;; amdgpu-corpus repo=ROCm/rocFFT kind=compiled arch=gfx1201 opt=O3
	.text
	.amdgcn_target "amdgcn-amd-amdhsa--gfx1201"
	.amdhsa_code_object_version 6
	.protected	bluestein_single_fwd_len1287_dim1_sp_op_CI_CI ; -- Begin function bluestein_single_fwd_len1287_dim1_sp_op_CI_CI
	.globl	bluestein_single_fwd_len1287_dim1_sp_op_CI_CI
	.p2align	8
	.type	bluestein_single_fwd_len1287_dim1_sp_op_CI_CI,@function
bluestein_single_fwd_len1287_dim1_sp_op_CI_CI: ; @bluestein_single_fwd_len1287_dim1_sp_op_CI_CI
; %bb.0:
	s_load_b128 s[8:11], s[0:1], 0x28
	v_mul_u32_u24_e32 v1, 0x231, v0
	s_mov_b32 s2, exec_lo
	v_mov_b32_e32 v85, 0
	s_delay_alu instid0(VALU_DEP_2) | instskip(NEXT) | instid1(VALU_DEP_1)
	v_lshrrev_b32_e32 v1, 16, v1
	v_add_nc_u32_e32 v84, ttmp9, v1
	s_wait_kmcnt 0x0
	s_delay_alu instid0(VALU_DEP_1)
	v_cmpx_gt_u64_e64 s[8:9], v[84:85]
	s_cbranch_execz .LBB0_31
; %bb.1:
	s_clause 0x1
	s_load_b128 s[4:7], s[0:1], 0x18
	s_load_b64 s[16:17], s[0:1], 0x0
	v_mul_lo_u16 v1, 0x75, v1
	s_movk_i32 s2, 0xfd1b
	s_mov_b32 s3, -1
	s_delay_alu instid0(VALU_DEP_1) | instskip(NEXT) | instid1(VALU_DEP_1)
	v_sub_nc_u16 v26, v0, v1
	v_and_b32_e32 v114, 0xffff, v26
	s_wait_kmcnt 0x0
	s_load_b128 s[12:15], s[4:5], 0x0
	s_wait_kmcnt 0x0
	v_mad_co_u64_u32 v[0:1], null, s14, v84, 0
	v_mad_co_u64_u32 v[2:3], null, s12, v114, 0
	s_mul_u64 s[4:5], s[12:13], 0x1ad
	s_mul_u64 s[2:3], s[12:13], s[2:3]
	s_delay_alu instid0(SALU_CYCLE_1) | instskip(NEXT) | instid1(VALU_DEP_1)
	s_lshl_b64 s[2:3], s[2:3], 3
	v_mad_co_u64_u32 v[4:5], null, s15, v84, v[1:2]
	s_delay_alu instid0(VALU_DEP_1) | instskip(NEXT) | instid1(VALU_DEP_3)
	v_mov_b32_e32 v1, v4
	v_mad_co_u64_u32 v[5:6], null, s13, v114, v[3:4]
	v_lshlrev_b32_e32 v113, 3, v114
	s_clause 0x2
	global_load_b64 v[99:100], v113, s[16:17]
	global_load_b64 v[97:98], v113, s[16:17] offset:936
	global_load_b64 v[87:88], v113, s[16:17] offset:4368
	v_mov_b32_e32 v3, v5
	v_lshlrev_b64_e32 v[0:1], 3, v[0:1]
	s_clause 0x3
	global_load_b64 v[101:102], v113, s[16:17] offset:6864
	global_load_b64 v[91:92], v113, s[16:17] offset:7800
	;; [unrolled: 1-line block ×4, first 2 shown]
	v_lshlrev_b64_e32 v[2:3], 3, v[2:3]
	v_add_co_u32 v0, vcc_lo, s10, v0
	v_add_co_ci_u32_e32 v1, vcc_lo, s11, v1, vcc_lo
	s_lshl_b64 s[10:11], s[4:5], 3
	s_delay_alu instid0(VALU_DEP_2) | instskip(SKIP_1) | instid1(VALU_DEP_2)
	v_add_co_u32 v0, vcc_lo, v0, v2
	s_wait_alu 0xfffd
	v_add_co_ci_u32_e32 v1, vcc_lo, v1, v3, vcc_lo
	s_wait_alu 0xfffe
	s_delay_alu instid0(VALU_DEP_2) | instskip(SKIP_1) | instid1(VALU_DEP_2)
	v_add_co_u32 v2, vcc_lo, v0, s10
	s_wait_alu 0xfffd
	v_add_co_ci_u32_e32 v3, vcc_lo, s11, v1, vcc_lo
	s_delay_alu instid0(VALU_DEP_2) | instskip(SKIP_1) | instid1(VALU_DEP_2)
	v_add_co_u32 v4, vcc_lo, v2, s10
	s_wait_alu 0xfffd
	v_add_co_ci_u32_e32 v5, vcc_lo, s11, v3, vcc_lo
	s_delay_alu instid0(VALU_DEP_2)
	v_add_co_u32 v6, vcc_lo, v4, s2
	s_clause 0x2
	global_load_b64 v[8:9], v[0:1], off
	global_load_b64 v[10:11], v[2:3], off
	;; [unrolled: 1-line block ×3, first 2 shown]
	s_wait_alu 0xfffd
	v_add_co_ci_u32_e32 v7, vcc_lo, s3, v5, vcc_lo
	v_add_co_u32 v0, vcc_lo, v6, s10
	s_wait_alu 0xfffd
	s_delay_alu instid0(VALU_DEP_2) | instskip(NEXT) | instid1(VALU_DEP_2)
	v_add_co_ci_u32_e32 v1, vcc_lo, s11, v7, vcc_lo
	v_add_co_u32 v12, vcc_lo, v0, s10
	s_clause 0x1
	global_load_b64 v[5:6], v[6:7], off
	global_load_b64 v[14:15], v[0:1], off
	s_wait_alu 0xfffd
	v_add_co_ci_u32_e32 v13, vcc_lo, s11, v1, vcc_lo
	v_add_co_u32 v0, vcc_lo, v12, s2
	s_wait_alu 0xfffd
	s_delay_alu instid0(VALU_DEP_2) | instskip(NEXT) | instid1(VALU_DEP_2)
	v_add_co_ci_u32_e32 v1, vcc_lo, s3, v13, vcc_lo
	v_add_co_u32 v16, vcc_lo, v0, s10
	global_load_b64 v[12:13], v[12:13], off
	s_wait_alu 0xfffd
	v_add_co_ci_u32_e32 v17, vcc_lo, s11, v1, vcc_lo
	global_load_b64 v[18:19], v[0:1], off
	v_add_co_u32 v0, vcc_lo, v16, s10
	s_wait_alu 0xfffd
	v_add_co_ci_u32_e32 v1, vcc_lo, s11, v17, vcc_lo
	v_cmp_gt_u16_e32 vcc_lo, 0x4e, v26
	s_wait_loadcnt 0x6
	v_mul_f32_e32 v7, v9, v100
	s_wait_loadcnt 0x5
	v_mul_f32_e32 v22, v11, v104
	;; [unrolled: 2-line block ×3, first 2 shown]
	global_load_b64 v[93:94], v113, s[16:17] offset:5304
	global_load_b64 v[16:17], v[16:17], off
	global_load_b64 v[95:96], v113, s[16:17] offset:8736
	global_load_b64 v[20:21], v[0:1], off
	v_mul_f32_e32 v25, v3, v102
	s_load_b64 s[8:9], s[0:1], 0x38
	s_load_b128 s[4:7], s[6:7], 0x0
	v_dual_mul_f32 v27, v8, v100 :: v_dual_fmac_f32 v22, v10, v103
	v_dual_mul_f32 v23, v10, v104 :: v_dual_fmac_f32 v24, v3, v101
	v_fmac_f32_e32 v7, v8, v99
	v_fma_f32 v25, v4, v101, -v25
	s_wait_loadcnt 0x7
	v_mul_f32_e32 v4, v5, v98
	v_mul_f32_e32 v3, v6, v98
	v_fma_f32 v8, v9, v99, -v27
	v_fma_f32 v23, v11, v103, -v23
	v_add_co_u32 v85, s12, s16, v113
	v_fma_f32 v4, v6, v97, -v4
	s_wait_loadcnt 0x6
	v_mul_f32_e32 v6, v14, v88
	s_wait_alu 0xf1ff
	v_add_co_ci_u32_e64 v86, null, s17, 0, s12
	v_add_nc_u32_e32 v2, 0x1000, v113
	s_wait_loadcnt 0x5
	v_mul_f32_e32 v10, v12, v92
	v_mul_f32_e32 v9, v13, v92
	v_fmac_f32_e32 v3, v5, v97
	v_mul_f32_e32 v5, v15, v88
	s_wait_loadcnt 0x4
	v_mul_f32_e32 v11, v19, v90
	v_fma_f32 v10, v13, v91, -v10
	v_dual_fmac_f32 v9, v12, v91 :: v_dual_mul_f32 v12, v18, v90
	v_fmac_f32_e32 v5, v14, v87
	v_fma_f32 v6, v15, v87, -v6
	v_fmac_f32_e32 v11, v18, v89
	ds_store_b64 v113, v[22:23] offset:3432
	ds_store_b64 v113, v[24:25] offset:6864
	v_fma_f32 v12, v19, v89, -v12
	s_wait_loadcnt 0x2
	v_mul_f32_e32 v13, v17, v94
	v_mul_f32_e32 v14, v16, v94
	s_wait_loadcnt 0x0
	v_mul_f32_e32 v18, v20, v96
	v_mul_f32_e32 v15, v21, v96
	v_fmac_f32_e32 v13, v16, v93
	v_fma_f32 v14, v17, v93, -v14
	s_delay_alu instid0(VALU_DEP_4) | instskip(NEXT) | instid1(VALU_DEP_4)
	v_fma_f32 v16, v21, v95, -v18
	v_fmac_f32_e32 v15, v20, v95
	v_add_nc_u32_e32 v17, 0x1c00, v113
	ds_store_2addr_b64 v113, v[7:8], v[3:4] offset1:117
	ds_store_b64 v113, v[11:12] offset:1872
	ds_store_2addr_b64 v2, v[5:6], v[13:14] offset0:34 offset1:151
	ds_store_2addr_b64 v17, v[9:10], v[15:16] offset0:79 offset1:196
	s_and_saveexec_b32 s12, vcc_lo
	s_cbranch_execz .LBB0_3
; %bb.2:
	v_add_co_u32 v0, s2, v0, s2
	s_wait_alu 0xf1ff
	v_add_co_ci_u32_e64 v1, s2, s3, v1, s2
	global_load_b64 v[5:6], v[85:86], off offset:2808
	global_load_b64 v[3:4], v[0:1], off
	v_add_co_u32 v0, s2, v0, s10
	s_wait_alu 0xf1ff
	v_add_co_ci_u32_e64 v1, s2, s11, v1, s2
	s_delay_alu instid0(VALU_DEP_2) | instskip(SKIP_1) | instid1(VALU_DEP_2)
	v_add_co_u32 v7, s2, v0, s10
	s_wait_alu 0xf1ff
	v_add_co_ci_u32_e64 v8, s2, s11, v1, s2
	global_load_b64 v[0:1], v[0:1], off
	s_clause 0x1
	global_load_b64 v[9:10], v[85:86], off offset:6240
	global_load_b64 v[11:12], v[85:86], off offset:9672
	global_load_b64 v[7:8], v[7:8], off
	s_wait_loadcnt 0x4
	v_mul_f32_e32 v13, v4, v6
	v_mul_f32_e32 v14, v3, v6
	s_wait_loadcnt 0x0
	v_mul_f32_e32 v6, v8, v12
	v_mul_f32_e32 v12, v7, v12
	v_fmac_f32_e32 v13, v3, v5
	v_mul_f32_e32 v3, v1, v10
	v_mul_f32_e32 v10, v0, v10
	v_fmac_f32_e32 v6, v7, v11
	v_fma_f32 v7, v8, v11, -v12
	s_delay_alu instid0(VALU_DEP_4)
	v_fmac_f32_e32 v3, v0, v9
	v_fma_f32 v14, v4, v5, -v14
	v_fma_f32 v4, v1, v9, -v10
	ds_store_b64 v113, v[13:14] offset:2808
	ds_store_b64 v113, v[3:4] offset:6240
	;; [unrolled: 1-line block ×3, first 2 shown]
.LBB0_3:
	s_wait_alu 0xfffe
	s_or_b32 exec_lo, exec_lo, s12
	v_add_nc_u32_e32 v0, 0x600, v113
	v_add_nc_u32_e32 v1, 0x1800, v113
	global_wb scope:SCOPE_SE
	s_wait_dscnt 0x0
	s_wait_kmcnt 0x0
	s_barrier_signal -1
	s_barrier_wait -1
	global_inv scope:SCOPE_SE
	ds_load_2addr_b64 v[36:39], v113 offset1:117
	ds_load_2addr_b64 v[28:31], v0 offset0:42 offset1:237
	ds_load_2addr_b64 v[4:7], v1 offset0:90 offset1:207
	;; [unrolled: 1-line block ×3, first 2 shown]
	ds_load_b64 v[12:13], v113 offset:8736
                                        ; implicit-def: $vgpr34
                                        ; implicit-def: $vgpr10
                                        ; implicit-def: $vgpr8
	s_and_saveexec_b32 s2, vcc_lo
	s_cbranch_execz .LBB0_5
; %bb.4:
	ds_load_b64 v[34:35], v113 offset:2808
	ds_load_b64 v[10:11], v113 offset:6240
	;; [unrolled: 1-line block ×3, first 2 shown]
.LBB0_5:
	s_wait_alu 0xfffe
	s_or_b32 exec_lo, exec_lo, s2
	s_load_b64 s[2:3], s[0:1], 0x8
	v_add_co_u32 v64, s0, 0x75, v114
	s_wait_alu 0xf1ff
	v_add_co_ci_u32_e64 v14, null, 0, 0, s0
	v_add_co_u32 v65, s0, 0xea, v114
	s_wait_alu 0xf1ff
	v_add_co_ci_u32_e64 v14, null, 0, 0, s0
	s_wait_dscnt 0x2
	v_dual_add_f32 v14, v30, v4 :: v_dual_add_f32 v15, v36, v30
	v_add_f32_e32 v16, v31, v5
	v_add_co_u32 v66, null, 0x15f, v114
	s_delay_alu instid0(VALU_DEP_3) | instskip(NEXT) | instid1(VALU_DEP_4)
	v_fma_f32 v40, -0.5, v14, v36
	v_dual_add_f32 v24, v15, v4 :: v_dual_add_f32 v15, v37, v31
	v_sub_f32_e32 v14, v31, v5
	v_fma_f32 v41, -0.5, v16, v37
	v_sub_f32_e32 v4, v30, v4
	v_mul_u32_u24_e32 v118, 3, v66
	v_add_f32_e32 v25, v15, v5
	s_wait_dscnt 0x1
	v_dual_add_f32 v5, v0, v6 :: v_dual_fmamk_f32 v26, v14, 0x3f5db3d7, v40
	v_dual_fmac_f32 v40, 0xbf5db3d7, v14 :: v_dual_fmamk_f32 v27, v4, 0xbf5db3d7, v41
	v_add_f32_e32 v14, v38, v0
	v_dual_fmac_f32 v41, 0x3f5db3d7, v4 :: v_dual_add_f32 v4, v1, v7
	s_delay_alu instid0(VALU_DEP_4)
	v_fma_f32 v38, -0.5, v5, v38
	v_sub_f32_e32 v5, v1, v7
	v_dual_add_f32 v1, v39, v1 :: v_dual_sub_f32 v0, v0, v6
	global_wb scope:SCOPE_SE
	s_wait_dscnt 0x0
	s_wait_kmcnt 0x0
	s_barrier_signal -1
	s_barrier_wait -1
	v_add_f32_e32 v31, v1, v7
	v_add_f32_e32 v1, v2, v12
	v_dual_add_f32 v30, v14, v6 :: v_dual_fmac_f32 v39, -0.5, v4
	v_fmamk_f32 v32, v5, 0x3f5db3d7, v38
	v_fmac_f32_e32 v38, 0xbf5db3d7, v5
	v_add_f32_e32 v4, v28, v2
	v_fma_f32 v28, -0.5, v1, v28
	v_sub_f32_e32 v1, v3, v13
	v_fmamk_f32 v33, v0, 0xbf5db3d7, v39
	v_dual_fmac_f32 v39, 0x3f5db3d7, v0 :: v_dual_add_f32 v0, v3, v13
	v_add_f32_e32 v3, v29, v3
	s_delay_alu instid0(VALU_DEP_4) | instskip(SKIP_1) | instid1(VALU_DEP_4)
	v_fmamk_f32 v46, v1, 0x3f5db3d7, v28
	v_dual_fmac_f32 v28, 0xbf5db3d7, v1 :: v_dual_add_f32 v1, v10, v8
	v_fmac_f32_e32 v29, -0.5, v0
	v_sub_f32_e32 v0, v2, v12
	v_add_f32_e32 v2, v34, v10
	v_dual_add_f32 v44, v4, v12 :: v_dual_add_f32 v45, v3, v13
	v_fmac_f32_e32 v34, -0.5, v1
	v_sub_f32_e32 v1, v11, v9
	v_fmamk_f32 v47, v0, 0xbf5db3d7, v29
	v_dual_fmac_f32 v29, 0x3f5db3d7, v0 :: v_dual_add_f32 v0, v11, v9
	v_add_f32_e32 v48, v2, v8
	v_add_f32_e32 v2, v35, v11
	v_mul_lo_u16 v3, v114, 3
	global_inv scope:SCOPE_SE
	v_dual_fmac_f32 v35, -0.5, v0 :: v_dual_fmamk_f32 v50, v1, 0x3f5db3d7, v34
	v_fmac_f32_e32 v34, 0xbf5db3d7, v1
	v_mul_u32_u24_e32 v1, 3, v64
	s_delay_alu instid0(VALU_DEP_1) | instskip(NEXT) | instid1(VALU_DEP_1)
	v_dual_sub_f32 v0, v10, v8 :: v_dual_lshlrev_b32 v119, 3, v1
	v_fmamk_f32 v51, v0, 0xbf5db3d7, v35
	v_fmac_f32_e32 v35, 0x3f5db3d7, v0
	v_dual_add_f32 v49, v2, v9 :: v_dual_and_b32 v0, 0xffff, v3
	v_mul_u32_u24_e32 v2, 3, v65
	s_delay_alu instid0(VALU_DEP_2) | instskip(NEXT) | instid1(VALU_DEP_2)
	v_lshlrev_b32_e32 v120, 3, v0
	v_lshlrev_b32_e32 v117, 3, v2
	ds_store_2addr_b64 v120, v[24:25], v[26:27] offset1:1
	ds_store_b64 v120, v[40:41] offset:16
	ds_store_2addr_b64 v119, v[30:31], v[32:33] offset1:1
	ds_store_b64 v119, v[38:39] offset:16
	;; [unrolled: 2-line block ×3, first 2 shown]
	s_and_saveexec_b32 s0, vcc_lo
	s_cbranch_execz .LBB0_7
; %bb.6:
	v_lshlrev_b32_e32 v0, 3, v118
	ds_store_2addr_b64 v0, v[48:49], v[50:51] offset1:1
	ds_store_b64 v0, v[34:35] offset:16
.LBB0_7:
	s_wait_alu 0xfffe
	s_or_b32 exec_lo, exec_lo, s0
	v_cmp_gt_u16_e64 s0, 0x63, v114
	global_wb scope:SCOPE_SE
	s_wait_dscnt 0x0
	s_barrier_signal -1
	s_barrier_wait -1
	global_inv scope:SCOPE_SE
                                        ; implicit-def: $vgpr52
	s_and_saveexec_b32 s1, s0
	s_cbranch_execz .LBB0_9
; %bb.8:
	v_add_nc_u32_e32 v0, 0x1800, v113
	v_add_nc_u32_e32 v2, 0x800, v113
	ds_load_2addr_b64 v[28:31], v0 offset0:24 offset1:123
	v_add_nc_u32_e32 v1, 0x1c00, v113
	v_add_nc_u32_e32 v0, 0x400, v113
	s_wait_dscnt 0x0
	v_mov_b32_e32 v48, v30
	ds_load_2addr_b64 v[32:35], v1 offset0:94 offset1:193
	ds_load_2addr_b64 v[36:39], v2 offset0:140 offset1:239
	;; [unrolled: 1-line block ×3, first 2 shown]
	v_dual_mov_b32 v49, v31 :: v_dual_add_nc_u32 v0, 0x1000, v113
	s_wait_dscnt 0x2
	v_dual_mov_b32 v50, v32 :: v_dual_mov_b32 v51, v33
	s_wait_dscnt 0x0
	v_mov_b32_e32 v31, v43
	ds_load_2addr_b64 v[24:27], v113 offset1:99
	ds_load_b64 v[52:53], v113 offset:9504
	ds_load_2addr_b64 v[44:47], v0 offset0:82 offset1:181
	v_dual_mov_b32 v32, v36 :: v_dual_mov_b32 v33, v37
	v_mov_b32_e32 v30, v42
.LBB0_9:
	s_wait_alu 0xfffe
	s_or_b32 exec_lo, exec_lo, s1
	v_and_b32_e32 v67, 0xff, v114
	s_delay_alu instid0(VALU_DEP_1) | instskip(NEXT) | instid1(VALU_DEP_1)
	v_mul_lo_u16 v0, 0xab, v67
	v_lshrrev_b16 v116, 9, v0
	s_delay_alu instid0(VALU_DEP_1) | instskip(SKIP_1) | instid1(VALU_DEP_2)
	v_mul_lo_u16 v0, v116, 3
	v_and_b32_e32 v116, 0xffff, v116
	v_sub_nc_u16 v0, v114, v0
	s_delay_alu instid0(VALU_DEP_1) | instskip(NEXT) | instid1(VALU_DEP_1)
	v_and_b32_e32 v115, 0xff, v0
	v_mul_u32_u24_e32 v0, 12, v115
	s_delay_alu instid0(VALU_DEP_1)
	v_lshlrev_b32_e32 v4, 3, v0
	s_clause 0x5
	global_load_b128 v[20:23], v4, s[2:3]
	global_load_b128 v[16:19], v4, s[2:3] offset:16
	global_load_b128 v[12:15], v4, s[2:3] offset:32
	;; [unrolled: 1-line block ×5, first 2 shown]
	global_wb scope:SCOPE_SE
	s_wait_loadcnt_dscnt 0x0
	s_barrier_signal -1
	s_barrier_wait -1
	global_inv scope:SCOPE_SE
	v_mul_f32_e32 v71, v26, v21
	v_mul_f32_e32 v56, v27, v21
	v_dual_mul_f32 v70, v40, v23 :: v_dual_mul_f32 v55, v46, v1
	v_dual_mul_f32 v54, v28, v3 :: v_dual_mul_f32 v81, v35, v5
	;; [unrolled: 1-line block ×3, first 2 shown]
	v_mul_f32_e32 v36, v52, v7
	v_dual_mul_f32 v59, v33, v19 :: v_dual_mul_f32 v60, v39, v13
	v_dual_mul_f32 v77, v47, v1 :: v_dual_mul_f32 v78, v29, v3
	;; [unrolled: 1-line block ×3, first 2 shown]
	v_fma_f32 v76, v26, v20, -v56
	v_dual_fmac_f32 v71, v27, v20 :: v_dual_fmac_f32 v70, v41, v22
	v_dual_fmac_f32 v55, v47, v0 :: v_dual_fmac_f32 v54, v29, v2
	v_fma_f32 v29, v52, v6, -v82
	v_dual_fmac_f32 v36, v53, v6 :: v_dual_fmac_f32 v37, v35, v4
	v_dual_mul_f32 v57, v41, v23 :: v_dual_mul_f32 v58, v31, v17
	v_dual_mul_f32 v69, v30, v17 :: v_dual_mul_f32 v68, v32, v19
	;; [unrolled: 1-line block ×3, first 2 shown]
	v_fma_f32 v73, v32, v18, -v59
	v_fma_f32 v72, v38, v12, -v60
	;; [unrolled: 1-line block ×3, first 2 shown]
	v_dual_sub_f32 v129, v76, v29 :: v_dual_sub_f32 v110, v71, v36
	v_dual_mul_f32 v43, v48, v9 :: v_dual_mul_f32 v42, v50, v11
	v_fma_f32 v75, v40, v22, -v57
	v_dual_fmac_f32 v69, v31, v16 :: v_dual_fmac_f32 v68, v33, v18
	v_dual_fmac_f32 v63, v39, v12 :: v_dual_fmac_f32 v62, v45, v14
	v_fma_f32 v39, v28, v2, -v78
	v_fma_f32 v31, v34, v4, -v81
	v_add_f32_e32 v27, v71, v36
	v_sub_f32_e32 v141, v73, v38
	v_dual_mul_f32 v111, 0xbf52af12, v110 :: v_dual_mul_f32 v126, 0xbf52af12, v129
	v_dual_mul_f32 v61, v45, v15 :: v_dual_fmac_f32 v42, v51, v10
	v_fma_f32 v74, v30, v16, -v58
	v_dual_fmac_f32 v43, v49, v8 :: v_dual_add_f32 v26, v76, v29
	v_fma_f32 v32, v50, v10, -v80
	v_dual_add_f32 v30, v70, v37 :: v_dual_sub_f32 v133, v75, v31
	v_add_f32_e32 v34, v69, v42
	v_sub_f32_e32 v142, v72, v39
	v_dual_mul_f32 v80, 0xbf6f5d39, v141 :: v_dual_mul_f32 v155, 0xbf6f5d39, v110
	v_fma_f32 v59, 0x3f116cb1, v27, -v126
	v_mul_f32_e32 v108, 0xbeedf032, v129
	v_fma_f32 v41, v44, v14, -v61
	v_fma_f32 v40, v46, v0, -v77
	v_fmamk_f32 v191, v26, 0xbeb58ec6, v155
	v_dual_add_f32 v59, v25, v59 :: v_dual_mul_f32 v82, 0xbf52af12, v133
	v_fma_f32 v57, 0x3f62ad3f, v27, -v108
	v_dual_add_f32 v28, v75, v31 :: v_dual_sub_f32 v125, v70, v37
	v_dual_add_f32 v35, v73, v38 :: v_dual_sub_f32 v134, v68, v43
	v_dual_sub_f32 v138, v63, v54 :: v_dual_add_f32 v47, v41, v40
	s_delay_alu instid0(VALU_DEP_4)
	v_dual_mul_f32 v122, 0x3f7e222b, v142 :: v_dual_add_f32 v57, v25, v57
	v_add_f32_e32 v191, v24, v191
	v_fma_f32 v61, 0x3f116cb1, v30, -v82
	v_dual_add_f32 v33, v74, v32 :: v_dual_sub_f32 v130, v69, v42
	v_dual_add_f32 v45, v72, v39 :: v_dual_add_f32 v46, v63, v54
	v_dual_mul_f32 v112, 0xbf6f5d39, v125 :: v_dual_mul_f32 v51, 0xbf6f5d39, v134
	v_dual_mul_f32 v109, 0x3f29c268, v134 :: v_dual_mul_f32 v156, 0x3f29c268, v125
	;; [unrolled: 1-line block ×3, first 2 shown]
	v_dual_mul_f32 v146, 0xbf52af12, v138 :: v_dual_add_f32 v57, v61, v57
	v_fmamk_f32 v58, v26, 0x3f116cb1, v111
	v_dual_sub_f32 v137, v74, v32 :: v_dual_add_f32 v44, v68, v43
	v_dual_sub_f32 v140, v62, v55 :: v_dual_mul_f32 v77, 0xbeedf032, v110
	v_dual_mul_f32 v132, 0xbe750f2a, v125 :: v_dual_mul_f32 v121, 0xbe750f2a, v130
	s_delay_alu instid0(VALU_DEP_2)
	v_dual_mul_f32 v50, 0xbf29c268, v138 :: v_dual_mul_f32 v143, 0xbf29c268, v140
	v_dual_fmamk_f32 v169, v35, 0xbf3f9e67, v109 :: v_dual_fmamk_f32 v192, v28, 0xbf3f9e67, v156
	v_mul_f32_e32 v162, 0xbf6f5d39, v129
	v_fmamk_f32 v185, v35, 0x3f62ad3f, v145
	v_fmamk_f32 v105, v28, 0xbeb58ec6, v112
	;; [unrolled: 1-line block ×3, first 2 shown]
	v_dual_mul_f32 v127, 0xbf6f5d39, v133 :: v_dual_add_f32 v58, v24, v58
	v_dual_add_f32 v48, v62, v55 :: v_dual_sub_f32 v139, v41, v40
	v_mul_f32_e32 v123, 0x3f29c268, v141
	s_delay_alu instid0(VALU_DEP_3) | instskip(NEXT) | instid1(VALU_DEP_4)
	v_fma_f32 v106, 0xbeb58ec6, v30, -v127
	v_add_f32_e32 v58, v105, v58
	v_mul_f32_e32 v128, 0xbe750f2a, v137
	v_fmamk_f32 v171, v45, 0xbf3f9e67, v50
	v_fmamk_f32 v165, v33, 0xbf788fa5, v121
	v_mul_f32_e32 v161, 0x3f29c268, v133
	v_add_f32_e32 v105, v192, v191
	v_fma_f32 v193, 0xbeb58ec6, v27, -v162
	v_mul_f32_e32 v78, 0xbe750f2a, v139
	v_fmamk_f32 v56, v26, 0x3f62ad3f, v77
	v_mul_f32_e32 v131, 0xbf7e222b, v110
	v_add_f32_e32 v59, v106, v59
	v_fma_f32 v166, 0xbf788fa5, v34, -v128
	v_mul_f32_e32 v160, 0x3eedf032, v137
	v_add_f32_e32 v193, v25, v193
	v_add_f32_e32 v58, v165, v58
	v_fma_f32 v194, 0xbf3f9e67, v30, -v161
	v_add_f32_e32 v59, v166, v59
	v_dual_mul_f32 v135, 0xbf7e222b, v129 :: v_dual_mul_f32 v152, 0xbf7e222b, v134
	s_delay_alu instid0(VALU_DEP_3)
	v_dual_mul_f32 v83, 0x3f7e222b, v138 :: v_dual_add_f32 v106, v194, v193
	v_fma_f32 v196, 0x3f62ad3f, v34, -v160
	v_mul_f32_e32 v151, 0x3f52af12, v140
	v_dual_add_f32 v56, v24, v56 :: v_dual_fmamk_f32 v179, v26, 0x3df6dbef, v131
	v_mul_f32_e32 v52, 0xbf52af12, v125
	v_dual_mul_f32 v136, 0xbe750f2a, v133 :: v_dual_mul_f32 v49, 0xbe750f2a, v140
	v_dual_mul_f32 v144, 0x3f6f5d39, v130 :: v_dual_mul_f32 v149, 0x3f6f5d39, v137
	v_fma_f32 v180, 0x3df6dbef, v27, -v135
	v_add_f32_e32 v179, v24, v179
	v_add_f32_e32 v106, v196, v106
	v_dual_fmamk_f32 v60, v28, 0x3f116cb1, v52 :: v_dual_fmamk_f32 v201, v47, 0x3f116cb1, v151
	v_fmamk_f32 v181, v28, 0xbf788fa5, v132
	v_dual_mul_f32 v53, 0xbf7e222b, v130 :: v_dual_add_f32 v180, v25, v180
	s_delay_alu instid0(VALU_DEP_3) | instskip(NEXT) | instid1(VALU_DEP_3)
	v_dual_mul_f32 v81, 0xbf7e222b, v137 :: v_dual_add_f32 v56, v60, v56
	v_dual_mul_f32 v79, 0xbf29c268, v142 :: v_dual_add_f32 v60, v181, v179
	v_fma_f32 v182, 0xbf788fa5, v30, -v136
	v_fmamk_f32 v183, v33, 0xbeb58ec6, v144
	v_mul_f32_e32 v159, 0xbf7e222b, v141
	v_mul_f32_e32 v148, 0xbf52af12, v142
	v_fma_f32 v164, 0x3df6dbef, v34, -v81
	v_dual_add_f32 v61, v182, v180 :: v_dual_mul_f32 v154, 0x3eedf032, v130
	v_fma_f32 v184, 0xbeb58ec6, v34, -v149
	v_mul_f32_e32 v158, 0x3e750f2a, v142
	v_add_f32_e32 v60, v183, v60
	v_fma_f32 v198, 0x3df6dbef, v44, -v159
	v_dual_mul_f32 v157, 0x3f52af12, v139 :: v_dual_add_f32 v58, v169, v58
	v_fmamk_f32 v163, v33, 0x3df6dbef, v53
	s_delay_alu instid0(VALU_DEP_3)
	v_dual_add_f32 v57, v164, v57 :: v_dual_add_f32 v106, v198, v106
	v_fmamk_f32 v195, v33, 0x3f62ad3f, v154
	v_add_f32_e32 v61, v184, v61
	v_fma_f32 v200, 0xbf788fa5, v46, -v158
	v_fmamk_f32 v173, v45, 0x3df6dbef, v83
	v_dual_mul_f32 v147, 0xbf29c268, v139 :: v_dual_add_f32 v56, v163, v56
	v_fma_f32 v168, 0xbeb58ec6, v44, -v80
	v_fma_f32 v170, 0xbf3f9e67, v44, -v123
	;; [unrolled: 1-line block ×3, first 2 shown]
	v_fmamk_f32 v197, v35, 0x3df6dbef, v152
	v_dual_add_f32 v105, v195, v105 :: v_dual_add_f32 v164, v200, v106
	v_dual_fmamk_f32 v167, v35, 0xbeb58ec6, v51 :: v_dual_add_f32 v58, v173, v58
	v_mul_f32_e32 v153, 0x3e750f2a, v138
	v_dual_mul_f32 v107, 0x3eedf032, v140 :: v_dual_mul_f32 v124, 0x3eedf032, v139
	v_fma_f32 v172, 0xbf3f9e67, v46, -v79
	v_fma_f32 v174, 0x3df6dbef, v46, -v122
	;; [unrolled: 1-line block ×3, first 2 shown]
	v_dual_add_f32 v56, v167, v56 :: v_dual_fmamk_f32 v199, v45, 0xbf788fa5, v153
	v_add_f32_e32 v57, v168, v57
	v_dual_add_f32 v59, v170, v59 :: v_dual_add_f32 v60, v185, v60
	v_add_f32_e32 v61, v186, v61
	v_add_f32_e32 v105, v197, v105
	v_fma_f32 v176, 0xbf788fa5, v48, -v78
	v_fma_f32 v178, 0x3f62ad3f, v48, -v124
	v_fmamk_f32 v189, v47, 0xbf3f9e67, v143
	v_fma_f32 v190, 0xbf3f9e67, v48, -v147
	v_fma_f32 v202, 0x3f116cb1, v48, -v157
	v_add_f32_e32 v57, v172, v57
	v_fmamk_f32 v175, v47, 0xbf788fa5, v49
	v_dual_add_f32 v59, v174, v59 :: v_dual_add_f32 v60, v187, v60
	v_fmamk_f32 v177, v47, 0x3f62ad3f, v107
	v_dual_add_f32 v56, v171, v56 :: v_dual_add_f32 v61, v188, v61
	s_delay_alu instid0(VALU_DEP_3) | instskip(NEXT) | instid1(VALU_DEP_2)
	v_dual_add_f32 v163, v199, v105 :: v_dual_add_f32 v60, v189, v60
	v_dual_add_f32 v106, v176, v57 :: v_dual_add_f32 v105, v175, v56
	s_delay_alu instid0(VALU_DEP_4) | instskip(NEXT) | instid1(VALU_DEP_3)
	v_dual_add_f32 v58, v177, v58 :: v_dual_add_f32 v59, v178, v59
	v_dual_add_f32 v61, v190, v61 :: v_dual_add_f32 v56, v201, v163
	v_add_f32_e32 v57, v202, v164
	s_and_saveexec_b32 s1, s0
	s_cbranch_execz .LBB0_11
; %bb.10:
	v_mul_f32_e32 v190, 0xbe750f2a, v129
	v_mul_f32_e32 v202, 0xbe750f2a, v110
	;; [unrolled: 1-line block ×4, first 2 shown]
	v_dual_mul_f32 v187, 0x3f62ad3f, v33 :: v_dual_mul_f32 v188, 0x3f62ad3f, v34
	v_fmamk_f32 v163, v27, 0xbf788fa5, v190
	v_fma_f32 v205, 0xbf788fa5, v26, -v202
	v_mul_f32_e32 v194, 0x3f62ad3f, v35
	s_delay_alu instid0(VALU_DEP_4) | instskip(NEXT) | instid1(VALU_DEP_4)
	v_dual_mul_f32 v199, 0xbf29c268, v137 :: v_dual_add_f32 v160, v160, v188
	v_add_f32_e32 v163, v25, v163
	s_delay_alu instid0(VALU_DEP_4)
	v_add_f32_e32 v205, v24, v205
	v_fma_f32 v208, 0x3f62ad3f, v28, -v206
	v_fmamk_f32 v164, v30, 0x3f62ad3f, v195
	v_dual_mul_f32 v209, 0xbf29c268, v130 :: v_dual_mul_f32 v212, 0xbf29c268, v129
	v_dual_mul_f32 v179, 0xbf3f9e67, v28 :: v_dual_mul_f32 v180, 0xbf3f9e67, v30
	v_mul_f32_e32 v203, 0x3f52af12, v141
	v_dual_add_f32 v205, v208, v205 :: v_dual_mul_f32 v196, 0x3f62ad3f, v44
	v_add_f32_e32 v163, v164, v163
	v_fma_f32 v208, 0xbf3f9e67, v33, -v209
	v_fmamk_f32 v164, v34, 0xbf3f9e67, v199
	v_dual_mul_f32 v211, 0x3f52af12, v134 :: v_dual_sub_f32 v156, v179, v156
	v_mul_f32_e32 v207, 0xbf6f5d39, v142
	s_delay_alu instid0(VALU_DEP_4) | instskip(NEXT) | instid1(VALU_DEP_4)
	v_add_f32_e32 v129, v208, v205
	v_add_f32_e32 v163, v164, v163
	s_delay_alu instid0(VALU_DEP_4) | instskip(SKIP_3) | instid1(VALU_DEP_4)
	v_fma_f32 v205, 0x3f116cb1, v35, -v211
	v_fmamk_f32 v164, v44, 0x3f116cb1, v203
	v_mul_f32_e32 v189, 0xbeb58ec6, v35
	v_dual_mul_f32 v210, 0x3f7e222b, v139 :: v_dual_mul_f32 v213, 0x3f7e222b, v133
	v_add_f32_e32 v129, v205, v129
	s_delay_alu instid0(VALU_DEP_4) | instskip(SKIP_4) | instid1(VALU_DEP_3)
	v_dual_mul_f32 v204, 0x3df6dbef, v45 :: v_dual_add_f32 v163, v164, v163
	v_fmamk_f32 v164, v46, 0xbeb58ec6, v207
	v_dual_mul_f32 v197, 0x3df6dbef, v35 :: v_dual_mul_f32 v198, 0x3df6dbef, v44
	v_mul_f32_e32 v208, 0xbf6f5d39, v138
	v_mul_f32_e32 v215, 0xbf29c268, v110
	v_dual_add_f32 v163, v164, v163 :: v_dual_sub_f32 v152, v197, v152
	v_fmamk_f32 v164, v48, 0x3df6dbef, v210
	v_mul_f32_e32 v191, 0xbeb58ec6, v44
	v_dual_add_f32 v161, v161, v180 :: v_dual_mul_f32 v180, 0xbf788fa5, v46
	v_fma_f32 v133, 0xbeb58ec6, v45, -v208
	s_delay_alu instid0(VALU_DEP_4)
	v_dual_add_f32 v164, v164, v163 :: v_dual_fmamk_f32 v163, v27, 0xbf3f9e67, v212
	v_dual_mul_f32 v205, 0x3f7e222b, v140 :: v_dual_sub_f32 v154, v187, v154
	v_mul_f32_e32 v137, 0xbf52af12, v137
	v_fma_f32 v216, 0xbf3f9e67, v26, -v215
	v_fmamk_f32 v214, v30, 0x3df6dbef, v213
	v_dual_add_f32 v158, v158, v180 :: v_dual_add_f32 v163, v25, v163
	v_add_f32_e32 v129, v133, v129
	v_fma_f32 v110, 0x3df6dbef, v47, -v205
	v_dual_mul_f32 v141, 0x3e750f2a, v141 :: v_dual_mul_f32 v134, 0x3e750f2a, v134
	s_delay_alu instid0(VALU_DEP_4) | instskip(SKIP_4) | instid1(VALU_DEP_4)
	v_dual_add_f32 v133, v214, v163 :: v_dual_mul_f32 v218, 0x3f116cb1, v45
	v_fmamk_f32 v214, v34, 0x3f116cb1, v137
	v_mul_f32_e32 v125, 0x3f7e222b, v125
	v_dual_mul_f32 v171, 0xbeb58ec6, v26 :: v_dual_mul_f32 v172, 0xbeb58ec6, v27
	v_add_f32_e32 v163, v110, v129
	v_dual_add_f32 v110, v214, v133 :: v_dual_fmamk_f32 v129, v44, 0xbf788fa5, v141
	v_add_f32_e32 v133, v24, v216
	v_fma_f32 v214, 0x3df6dbef, v28, -v125
	v_mul_f32_e32 v216, 0xbf52af12, v130
	v_mul_f32_e32 v142, 0x3eedf032, v142
	v_add_f32_e32 v110, v129, v110
	s_delay_alu instid0(VALU_DEP_4) | instskip(NEXT) | instid1(VALU_DEP_4)
	v_dual_mul_f32 v138, 0x3eedf032, v138 :: v_dual_add_f32 v129, v214, v133
	v_fma_f32 v130, 0x3f116cb1, v33, -v216
	v_dual_add_f32 v133, v162, v172 :: v_dual_mul_f32 v188, 0xbf788fa5, v47
	v_dual_mul_f32 v139, 0xbf6f5d39, v139 :: v_dual_mul_f32 v140, 0xbf6f5d39, v140
	s_delay_alu instid0(VALU_DEP_3) | instskip(SKIP_1) | instid1(VALU_DEP_4)
	v_add_f32_e32 v129, v130, v129
	v_fma_f32 v130, 0xbf788fa5, v35, -v134
	v_add_f32_e32 v133, v25, v133
	v_dual_mul_f32 v169, 0x3df6dbef, v26 :: v_dual_mul_f32 v170, 0x3df6dbef, v27
	v_sub_f32_e32 v155, v171, v155
	s_delay_alu instid0(VALU_DEP_4) | instskip(NEXT) | instid1(VALU_DEP_4)
	v_add_f32_e32 v129, v130, v129
	v_dual_fmamk_f32 v130, v46, 0x3f62ad3f, v142 :: v_dual_add_f32 v133, v161, v133
	v_fma_f32 v161, 0x3f62ad3f, v45, -v138
	v_dual_mul_f32 v177, 0xbf788fa5, v28 :: v_dual_mul_f32 v178, 0xbf788fa5, v30
	s_delay_alu instid0(VALU_DEP_3) | instskip(NEXT) | instid1(VALU_DEP_4)
	v_add_f32_e32 v110, v130, v110
	v_dual_add_f32 v130, v160, v133 :: v_dual_add_f32 v133, v159, v198
	v_mul_f32_e32 v198, 0x3f116cb1, v47
	v_dual_mul_f32 v160, 0x3f62ad3f, v47 :: v_dual_add_f32 v129, v161, v129
	v_mul_f32_e32 v161, 0xbf788fa5, v48
	s_delay_alu instid0(VALU_DEP_4) | instskip(SKIP_2) | instid1(VALU_DEP_3)
	v_dual_add_f32 v133, v133, v130 :: v_dual_fmamk_f32 v130, v48, 0xbeb58ec6, v139
	v_dual_mul_f32 v185, 0xbeb58ec6, v33 :: v_dual_mul_f32 v186, 0xbeb58ec6, v34
	v_dual_mul_f32 v171, 0xbf3f9e67, v47 :: v_dual_add_f32 v136, v136, v178
	v_add_f32_e32 v130, v130, v110
	v_dual_add_f32 v110, v135, v170 :: v_dual_mul_f32 v159, 0x3f62ad3f, v48
	v_dual_add_f32 v155, v24, v155 :: v_dual_mul_f32 v180, 0x3f116cb1, v48
	v_dual_mul_f32 v167, 0x3f116cb1, v26 :: v_dual_mul_f32 v168, 0x3f116cb1, v27
	s_delay_alu instid0(VALU_DEP_2) | instskip(SKIP_3) | instid1(VALU_DEP_4)
	v_dual_add_f32 v110, v25, v110 :: v_dual_add_f32 v155, v156, v155
	v_mul_f32_e32 v172, 0xbf788fa5, v45
	v_fma_f32 v156, 0xbeb58ec6, v47, -v140
	v_dual_mul_f32 v175, 0xbeb58ec6, v28 :: v_dual_mul_f32 v176, 0xbeb58ec6, v30
	v_add_f32_e32 v110, v136, v110
	v_dual_add_f32 v136, v149, v186 :: v_dual_add_f32 v135, v154, v155
	v_mul_f32_e32 v179, 0xbf3f9e67, v48
	v_dual_add_f32 v129, v156, v129 :: v_dual_sub_f32 v132, v177, v132
	s_delay_alu instid0(VALU_DEP_3) | instskip(SKIP_3) | instid1(VALU_DEP_3)
	v_add_f32_e32 v110, v136, v110
	v_dual_add_f32 v136, v150, v196 :: v_dual_sub_f32 v131, v169, v131
	v_dual_add_f32 v135, v152, v135 :: v_dual_add_f32 v126, v126, v168
	v_sub_f32_e32 v152, v172, v153
	v_add_f32_e32 v110, v136, v110
	s_delay_alu instid0(VALU_DEP_4)
	v_add_f32_e32 v131, v24, v131
	v_dual_mul_f32 v183, 0xbf788fa5, v33 :: v_dual_mul_f32 v184, 0xbf788fa5, v34
	v_dual_mul_f32 v217, 0x3df6dbef, v46 :: v_dual_add_f32 v154, v157, v180
	v_add_f32_e32 v133, v158, v133
	v_dual_add_f32 v135, v152, v135 :: v_dual_add_f32 v126, v25, v126
	v_add_f32_e32 v127, v127, v176
	v_dual_add_f32 v131, v132, v131 :: v_dual_sub_f32 v132, v185, v144
	v_dual_mul_f32 v192, 0xbf3f9e67, v35 :: v_dual_mul_f32 v193, 0xbf3f9e67, v44
	v_mul_f32_e32 v162, 0x3f116cb1, v46
	v_sub_f32_e32 v144, v194, v145
	v_dual_add_f32 v126, v127, v126 :: v_dual_add_f32 v127, v128, v184
	v_dual_add_f32 v122, v122, v217 :: v_dual_add_f32 v131, v132, v131
	v_dual_mul_f32 v165, 0x3f62ad3f, v26 :: v_dual_mul_f32 v166, 0x3f62ad3f, v27
	v_dual_add_f32 v133, v154, v133 :: v_dual_add_f32 v136, v148, v162
	s_delay_alu instid0(VALU_DEP_4) | instskip(NEXT) | instid1(VALU_DEP_4)
	v_dual_sub_f32 v149, v198, v151 :: v_dual_add_f32 v126, v127, v126
	v_dual_add_f32 v128, v144, v131 :: v_dual_sub_f32 v131, v218, v146
	v_sub_f32_e32 v112, v175, v112
	v_sub_f32_e32 v111, v167, v111
	v_dual_add_f32 v123, v123, v193 :: v_dual_add_f32 v110, v136, v110
	v_add_f32_e32 v132, v149, v135
	v_dual_add_f32 v135, v147, v179 :: v_dual_add_f32 v108, v108, v166
	s_delay_alu instid0(VALU_DEP_4) | instskip(NEXT) | instid1(VALU_DEP_4)
	v_dual_add_f32 v127, v131, v128 :: v_dual_add_f32 v128, v24, v111
	v_add_f32_e32 v123, v123, v126
	v_dual_mul_f32 v173, 0x3f116cb1, v28 :: v_dual_mul_f32 v174, 0x3f116cb1, v30
	s_delay_alu instid0(VALU_DEP_4) | instskip(NEXT) | instid1(VALU_DEP_3)
	v_dual_sub_f32 v121, v183, v121 :: v_dual_add_f32 v108, v25, v108
	v_add_f32_e32 v122, v122, v123
	s_delay_alu instid0(VALU_DEP_3) | instskip(SKIP_2) | instid1(VALU_DEP_2)
	v_dual_add_f32 v123, v124, v159 :: v_dual_add_f32 v82, v82, v174
	v_dual_add_f32 v112, v112, v128 :: v_dual_sub_f32 v131, v171, v143
	v_dual_add_f32 v111, v135, v110 :: v_dual_add_f32 v76, v24, v76
	v_dual_sub_f32 v109, v192, v109 :: v_dual_add_f32 v112, v121, v112
	s_delay_alu instid0(VALU_DEP_4) | instskip(NEXT) | instid1(VALU_DEP_4)
	v_dual_add_f32 v121, v25, v71 :: v_dual_add_f32 v82, v82, v108
	v_add_f32_e32 v110, v131, v127
	v_sub_f32_e32 v83, v204, v83
	s_delay_alu instid0(VALU_DEP_4) | instskip(NEXT) | instid1(VALU_DEP_4)
	v_add_f32_e32 v109, v109, v112
	v_dual_add_f32 v70, v121, v70 :: v_dual_mul_f32 v181, 0x3df6dbef, v33
	v_mul_f32_e32 v182, 0x3df6dbef, v34
	v_dual_add_f32 v71, v123, v122 :: v_dual_sub_f32 v52, v173, v52
	s_delay_alu instid0(VALU_DEP_3) | instskip(SKIP_1) | instid1(VALU_DEP_4)
	v_dual_add_f32 v69, v70, v69 :: v_dual_add_f32 v70, v76, v75
	v_dual_sub_f32 v76, v160, v107 :: v_dual_add_f32 v75, v83, v109
	v_add_f32_e32 v81, v81, v182
	s_delay_alu instid0(VALU_DEP_3) | instskip(SKIP_1) | instid1(VALU_DEP_4)
	v_dual_add_f32 v68, v69, v68 :: v_dual_add_f32 v69, v70, v74
	v_add_f32_e32 v74, v80, v191
	v_add_f32_e32 v70, v76, v75
	v_dual_mul_f32 v200, 0xbf3f9e67, v45 :: v_dual_mul_f32 v201, 0xbf3f9e67, v46
	s_delay_alu instid0(VALU_DEP_4) | instskip(SKIP_1) | instid1(VALU_DEP_3)
	v_dual_add_f32 v63, v68, v63 :: v_dual_add_f32 v68, v69, v73
	v_sub_f32_e32 v75, v165, v77
	v_dual_sub_f32 v53, v181, v53 :: v_dual_sub_f32 v50, v200, v50
	s_delay_alu instid0(VALU_DEP_3) | instskip(SKIP_4) | instid1(VALU_DEP_4)
	v_add_f32_e32 v62, v63, v62
	v_add_f32_e32 v81, v81, v82
	v_fmac_f32_e32 v202, 0xbf788fa5, v26
	v_fmac_f32_e32 v206, 0x3f62ad3f, v28
	v_dual_fmac_f32 v216, 0x3f116cb1, v33 :: v_dual_fmac_f32 v211, 0x3f116cb1, v35
	v_dual_add_f32 v69, v74, v81 :: v_dual_add_f32 v74, v24, v75
	v_fmac_f32_e32 v209, 0xbf3f9e67, v33
	v_fmac_f32_e32 v125, 0x3df6dbef, v28
	;; [unrolled: 1-line block ×4, first 2 shown]
	v_add_f32_e32 v52, v52, v74
	v_add_f32_e32 v63, v68, v72
	;; [unrolled: 1-line block ×3, first 2 shown]
	v_fma_f32 v33, 0xbeb58ec6, v48, -v139
	v_fmac_f32_e32 v140, 0xbeb58ec6, v47
	v_fmac_f32_e32 v138, 0x3f62ad3f, v45
	v_add_f32_e32 v62, v63, v41
	v_add_f32_e32 v73, v79, v201
	;; [unrolled: 1-line block ×3, first 2 shown]
	v_fma_f32 v55, 0xbf788fa5, v27, -v190
	v_add_f32_e32 v52, v53, v52
	v_add_f32_e32 v40, v62, v40
	s_delay_alu instid0(VALU_DEP_4) | instskip(SKIP_2) | instid1(VALU_DEP_4)
	v_dual_add_f32 v68, v73, v69 :: v_dual_add_f32 v43, v54, v43
	v_add_f32_e32 v69, v78, v161
	v_fma_f32 v53, 0x3f62ad3f, v30, -v195
	v_add_f32_e32 v39, v40, v39
	s_delay_alu instid0(VALU_DEP_4) | instskip(NEXT) | instid1(VALU_DEP_4)
	v_dual_sub_f32 v51, v189, v51 :: v_dual_add_f32 v42, v43, v42
	v_add_f32_e32 v41, v69, v68
	v_fma_f32 v27, 0xbf3f9e67, v27, -v212
	s_delay_alu instid0(VALU_DEP_4) | instskip(NEXT) | instid1(VALU_DEP_4)
	v_add_f32_e32 v38, v39, v38
	v_dual_add_f32 v40, v25, v55 :: v_dual_add_f32 v51, v51, v52
	v_add_f32_e32 v37, v42, v37
	v_fma_f32 v42, 0x3f116cb1, v44, -v203
	s_delay_alu instid0(VALU_DEP_4) | instskip(NEXT) | instid1(VALU_DEP_4)
	v_add_f32_e32 v38, v38, v32
	v_add_f32_e32 v39, v53, v40
	v_fma_f32 v40, 0xbf3f9e67, v34, -v199
	v_dual_add_f32 v43, v50, v51 :: v_dual_add_f32 v32, v37, v36
	s_delay_alu instid0(VALU_DEP_4) | instskip(NEXT) | instid1(VALU_DEP_3)
	v_dual_add_f32 v31, v38, v31 :: v_dual_add_f32 v38, v24, v202
	v_add_f32_e32 v39, v40, v39
	v_sub_f32_e32 v49, v188, v49
	v_fma_f32 v37, 0xbeb58ec6, v46, -v207
	v_add_f32_e32 v25, v25, v27
	v_dual_add_f32 v31, v31, v29 :: v_dual_add_f32 v26, v206, v38
	v_add_f32_e32 v36, v42, v39
	v_fma_f32 v27, 0x3df6dbef, v30, -v213
	v_add_f32_e32 v24, v24, v215
	v_mul_u32_u24_e32 v30, 39, v116
	v_add_f32_e32 v26, v209, v26
	v_add_f32_e32 v29, v37, v36
	;; [unrolled: 1-line block ×3, first 2 shown]
	v_fma_f32 v27, 0x3f116cb1, v34, -v137
	v_add_f32_e32 v24, v125, v24
	v_fma_f32 v28, 0x3df6dbef, v48, -v210
	v_add_f32_e32 v40, v49, v43
	v_add_lshl_u32 v30, v30, v115, 3
	s_delay_alu instid0(VALU_DEP_4) | instskip(SKIP_3) | instid1(VALU_DEP_4)
	v_add_f32_e32 v24, v216, v24
	v_add_f32_e32 v26, v211, v26
	;; [unrolled: 1-line block ×3, first 2 shown]
	v_fma_f32 v27, 0xbf788fa5, v44, -v141
	v_dual_add_f32 v24, v134, v24 :: v_dual_fmac_f32 v205, 0x3df6dbef, v47
	s_delay_alu instid0(VALU_DEP_2) | instskip(SKIP_1) | instid1(VALU_DEP_1)
	v_add_f32_e32 v25, v27, v25
	v_fma_f32 v27, 0x3f62ad3f, v46, -v142
	v_dual_add_f32 v34, v138, v24 :: v_dual_add_f32 v27, v27, v25
	s_delay_alu instid0(VALU_DEP_1) | instskip(NEXT) | instid1(VALU_DEP_1)
	v_dual_fmac_f32 v208, 0xbeb58ec6, v45 :: v_dual_add_f32 v27, v33, v27
	v_add_f32_e32 v26, v208, v26
	s_delay_alu instid0(VALU_DEP_1) | instskip(NEXT) | instid1(VALU_DEP_4)
	v_dual_add_f32 v25, v28, v29 :: v_dual_add_f32 v24, v205, v26
	v_add_f32_e32 v26, v140, v34
	ds_store_2addr_b64 v30, v[31:32], v[40:41] offset1:3
	ds_store_2addr_b64 v30, v[70:71], v[110:111] offset0:6 offset1:9
	ds_store_2addr_b64 v30, v[132:133], v[129:130] offset0:12 offset1:15
	;; [unrolled: 1-line block ×5, first 2 shown]
	ds_store_b64 v30, v[105:106] offset:288
.LBB0_11:
	s_wait_alu 0xfffe
	s_or_b32 exec_lo, exec_lo, s1
	v_add_nc_u32_e32 v24, 0x600, v113
	v_add_nc_u32_e32 v25, 0x1800, v113
	;; [unrolled: 1-line block ×3, first 2 shown]
	global_wb scope:SCOPE_SE
	s_wait_dscnt 0x0
	s_barrier_signal -1
	s_barrier_wait -1
	global_inv scope:SCOPE_SE
	ds_load_2addr_b64 v[36:39], v113 offset1:117
	ds_load_2addr_b64 v[28:31], v24 offset0:42 offset1:237
	ds_load_2addr_b64 v[40:43], v25 offset0:90 offset1:207
	;; [unrolled: 1-line block ×3, first 2 shown]
	ds_load_b64 v[62:63], v113 offset:8736
	s_and_saveexec_b32 s1, vcc_lo
	s_cbranch_execz .LBB0_13
; %bb.12:
	ds_load_b64 v[56:57], v113 offset:2808
	ds_load_b64 v[60:61], v113 offset:6240
	;; [unrolled: 1-line block ×3, first 2 shown]
.LBB0_13:
	s_wait_alu 0xfffe
	s_or_b32 exec_lo, exec_lo, s1
	v_mul_lo_u16 v24, 0xa5, v67
	v_and_b32_e32 v25, 0xffff, v65
	v_and_b32_e32 v26, 0xff, v64
	;; [unrolled: 1-line block ×3, first 2 shown]
	s_delay_alu instid0(VALU_DEP_4) | instskip(NEXT) | instid1(VALU_DEP_4)
	v_lshrrev_b16 v24, 8, v24
	v_mul_u32_u24_e32 v25, 0xa41b, v25
	s_delay_alu instid0(VALU_DEP_4) | instskip(NEXT) | instid1(VALU_DEP_4)
	v_mul_lo_u16 v26, 0xa5, v26
	v_mul_u32_u24_e32 v27, 0xa41b, v27
	s_delay_alu instid0(VALU_DEP_4) | instskip(NEXT) | instid1(VALU_DEP_4)
	v_sub_nc_u16 v32, v114, v24
	v_lshrrev_b32_e32 v25, 16, v25
	s_delay_alu instid0(VALU_DEP_4) | instskip(NEXT) | instid1(VALU_DEP_4)
	v_lshrrev_b16 v26, 8, v26
	v_lshrrev_b32_e32 v27, 16, v27
	s_delay_alu instid0(VALU_DEP_4) | instskip(NEXT) | instid1(VALU_DEP_4)
	v_lshrrev_b16 v32, 1, v32
	v_sub_nc_u16 v33, v65, v25
	s_delay_alu instid0(VALU_DEP_4) | instskip(NEXT) | instid1(VALU_DEP_4)
	v_sub_nc_u16 v34, v64, v26
	v_sub_nc_u16 v35, v66, v27
	s_delay_alu instid0(VALU_DEP_4) | instskip(NEXT) | instid1(VALU_DEP_4)
	v_and_b32_e32 v32, 0x7f, v32
	v_lshrrev_b16 v33, 1, v33
	s_delay_alu instid0(VALU_DEP_4) | instskip(NEXT) | instid1(VALU_DEP_4)
	v_lshrrev_b16 v34, 1, v34
	v_lshrrev_b16 v35, 1, v35
	s_delay_alu instid0(VALU_DEP_4) | instskip(NEXT) | instid1(VALU_DEP_4)
	v_add_nc_u16 v24, v32, v24
	v_add_nc_u16 v25, v33, v25
	s_delay_alu instid0(VALU_DEP_4) | instskip(NEXT) | instid1(VALU_DEP_4)
	v_and_b32_e32 v32, 0x7f, v34
	v_add_nc_u16 v27, v35, v27
	s_delay_alu instid0(VALU_DEP_4) | instskip(NEXT) | instid1(VALU_DEP_4)
	v_lshrrev_b16 v24, 5, v24
	v_lshrrev_b16 v67, 5, v25
	s_delay_alu instid0(VALU_DEP_4) | instskip(NEXT) | instid1(VALU_DEP_4)
	v_add_nc_u16 v25, v32, v26
	v_lshrrev_b16 v68, 5, v27
	s_delay_alu instid0(VALU_DEP_4) | instskip(NEXT) | instid1(VALU_DEP_4)
	v_and_b32_e32 v69, 7, v24
	v_mul_lo_u16 v24, v67, 39
	s_delay_alu instid0(VALU_DEP_4) | instskip(NEXT) | instid1(VALU_DEP_4)
	v_lshrrev_b16 v25, 5, v25
	v_mul_lo_u16 v26, v68, 39
	s_delay_alu instid0(VALU_DEP_4) | instskip(NEXT) | instid1(VALU_DEP_4)
	v_mul_lo_u16 v27, v69, 39
	v_sub_nc_u16 v65, v65, v24
	s_delay_alu instid0(VALU_DEP_4) | instskip(NEXT) | instid1(VALU_DEP_4)
	v_and_b32_e32 v70, 7, v25
	v_sub_nc_u16 v66, v66, v26
	s_delay_alu instid0(VALU_DEP_4) | instskip(NEXT) | instid1(VALU_DEP_4)
	v_sub_nc_u16 v24, v114, v27
	v_lshlrev_b16 v25, 4, v65
	v_mad_u16 v65, 0x75, v67, v65
	s_delay_alu instid0(VALU_DEP_4) | instskip(SKIP_3) | instid1(VALU_DEP_1)
	v_lshlrev_b16 v27, 4, v66
	v_mad_u16 v121, 0x75, v68, v66
	v_and_b32_e32 v71, 0xff, v24
	v_and_b32_e32 v24, 0xffff, v25
	v_add_co_u32 v24, s1, s2, v24
	s_wait_alu 0xf1ff
	v_add_co_ci_u32_e64 v25, null, s3, 0, s1
	global_load_b128 v[32:35], v[24:25], off offset:288
	s_wait_loadcnt_dscnt 0x0
	v_mul_f32_e32 v73, v62, v35
	v_mul_lo_u16 v26, v70, 39
	v_mul_f32_e32 v72, v63, v35
	s_delay_alu instid0(VALU_DEP_2) | instskip(SKIP_2) | instid1(VALU_DEP_2)
	v_sub_nc_u16 v44, v64, v26
	v_and_b32_e32 v26, 0xffff, v27
	v_lshlrev_b32_e32 v27, 4, v71
	v_add_co_u32 v26, s1, s2, v26
	global_load_b128 v[48:51], v27, s[2:3] offset:288
	v_and_b32_e32 v64, 0xff, v44
	s_delay_alu instid0(VALU_DEP_1)
	v_lshlrev_b32_e32 v44, 4, v64
	global_load_b128 v[44:47], v44, s[2:3] offset:288
	s_wait_alu 0xf1ff
	v_add_co_ci_u32_e64 v27, null, s3, 0, s1
	v_dual_mul_f32 v70, v55, v33 :: v_dual_and_b32 v67, 0xffff, v70
	global_load_b128 v[24:27], v[26:27], off offset:288
	v_and_b32_e32 v69, 0xffff, v69
	global_wb scope:SCOPE_SE
	s_wait_loadcnt 0x0
	s_barrier_signal -1
	s_barrier_wait -1
	global_inv scope:SCOPE_SE
	v_mul_u32_u24_e32 v69, 0x75, v69
	s_delay_alu instid0(VALU_DEP_1) | instskip(SKIP_4) | instid1(VALU_DEP_2)
	v_add_lshl_u32 v124, v69, v71, 3
	v_mul_f32_e32 v71, v54, v33
	v_fma_f32 v54, v54, v32, -v70
	v_mul_f32_e32 v68, v41, v51
	v_dual_mul_f32 v69, v40, v51 :: v_dual_mul_f32 v66, v31, v49
	v_fma_f32 v68, v40, v50, -v68
	s_delay_alu instid0(VALU_DEP_2) | instskip(NEXT) | instid1(VALU_DEP_3)
	v_fmac_f32_e32 v69, v41, v50
	v_fma_f32 v66, v30, v48, -v66
	v_fmac_f32_e32 v71, v55, v32
	v_fma_f32 v55, v62, v34, -v72
	v_mul_f32_e32 v40, v53, v45
	v_mul_u32_u24_e32 v67, 0x75, v67
	v_dual_mul_f32 v76, v52, v45 :: v_dual_mul_f32 v77, v42, v47
	v_mul_f32_e32 v41, v43, v47
	v_fmac_f32_e32 v73, v63, v34
	s_delay_alu instid0(VALU_DEP_4) | instskip(NEXT) | instid1(VALU_DEP_4)
	v_add_lshl_u32 v123, v67, v64, 3
	v_fmac_f32_e32 v76, v53, v44
	v_dual_mul_f32 v64, v58, v27 :: v_dual_and_b32 v65, 0xffff, v65
	v_mul_f32_e32 v67, v30, v49
	v_dual_mul_f32 v74, v61, v25 :: v_dual_mul_f32 v75, v59, v27
	s_delay_alu instid0(VALU_DEP_3) | instskip(NEXT) | instid1(VALU_DEP_3)
	v_fmac_f32_e32 v64, v59, v26
	v_dual_fmac_f32 v67, v31, v48 :: v_dual_lshlrev_b32 v122, 3, v65
	v_mul_f32_e32 v65, v60, v25
	s_delay_alu instid0(VALU_DEP_4)
	v_fma_f32 v31, v60, v24, -v74
	v_fma_f32 v30, v58, v26, -v75
	;; [unrolled: 1-line block ×4, first 2 shown]
	v_fmac_f32_e32 v65, v61, v24
	v_dual_fmac_f32 v77, v43, v46 :: v_dual_sub_f32 v62, v66, v68
	v_dual_add_f32 v42, v36, v66 :: v_dual_add_f32 v43, v66, v68
	v_add_f32_e32 v70, v29, v71
	v_dual_add_f32 v53, v37, v67 :: v_dual_add_f32 v74, v31, v30
	s_delay_alu instid0(VALU_DEP_3)
	v_dual_add_f32 v63, v28, v54 :: v_dual_add_f32 v42, v42, v68
	v_dual_add_f32 v66, v54, v55 :: v_dual_add_f32 v61, v67, v69
	v_sub_f32_e32 v40, v65, v64
	v_add_f32_e32 v75, v65, v64
	v_dual_sub_f32 v59, v67, v69 :: v_dual_sub_f32 v72, v54, v55
	v_dual_sub_f32 v67, v71, v73 :: v_dual_add_f32 v68, v58, v60
	v_fma_f32 v52, -0.5, v43, v36
	v_dual_add_f32 v43, v53, v69 :: v_dual_add_f32 v78, v39, v76
	v_sub_f32_e32 v69, v76, v77
	v_add_f32_e32 v76, v76, v77
	v_add_f32_e32 v71, v71, v73
	v_fma_f32 v53, -0.5, v61, v37
	v_dual_add_f32 v61, v38, v58 :: v_dual_add_f32 v54, v63, v55
	v_sub_f32_e32 v41, v31, v30
	v_fma_f32 v36, -0.5, v74, v56
	v_fma_f32 v37, -0.5, v75, v57
	;; [unrolled: 1-line block ×3, first 2 shown]
	v_sub_f32_e32 v79, v58, v60
	v_fma_f32 v38, -0.5, v68, v38
	v_dual_fmac_f32 v39, -0.5, v76 :: v_dual_fmamk_f32 v58, v59, 0x3f5db3d7, v52
	v_fmac_f32_e32 v52, 0xbf5db3d7, v59
	s_delay_alu instid0(VALU_DEP_3)
	v_dual_fmac_f32 v29, -0.5, v71 :: v_dual_fmamk_f32 v66, v69, 0x3f5db3d7, v38
	v_dual_fmamk_f32 v59, v62, 0xbf5db3d7, v53 :: v_dual_fmac_f32 v38, 0xbf5db3d7, v69
	v_dual_add_f32 v60, v61, v60 :: v_dual_add_f32 v61, v78, v77
	v_fmamk_f32 v108, v41, 0x3f5db3d7, v37
	v_fmamk_f32 v107, v40, 0xbf5db3d7, v36
	v_fmac_f32_e32 v53, 0x3f5db3d7, v62
	v_dual_add_f32 v55, v70, v73 :: v_dual_fmamk_f32 v62, v67, 0x3f5db3d7, v28
	v_dual_fmac_f32 v28, 0xbf5db3d7, v67 :: v_dual_fmamk_f32 v67, v79, 0xbf5db3d7, v39
	v_fmac_f32_e32 v39, 0x3f5db3d7, v79
	v_fmamk_f32 v63, v72, 0xbf5db3d7, v29
	v_fmac_f32_e32 v29, 0x3f5db3d7, v72
	ds_store_2addr_b64 v124, v[42:43], v[58:59] offset1:39
	ds_store_b64 v124, v[52:53] offset:624
	ds_store_2addr_b64 v123, v[60:61], v[66:67] offset1:39
	ds_store_b64 v123, v[38:39] offset:624
	ds_store_2addr_b64 v122, v[54:55], v[62:63] offset1:39
	ds_store_b64 v122, v[28:29] offset:624
	s_and_saveexec_b32 s1, vcc_lo
	s_cbranch_execz .LBB0_15
; %bb.14:
	v_dual_mul_f32 v28, 0x3f5db3d7, v41 :: v_dual_mul_f32 v39, 0x3f5db3d7, v40
	v_add_f32_e32 v38, v57, v65
	v_dual_add_f32 v40, v56, v31 :: v_dual_and_b32 v41, 0xffff, v121
	s_delay_alu instid0(VALU_DEP_3) | instskip(NEXT) | instid1(VALU_DEP_4)
	v_sub_f32_e32 v29, v37, v28
	v_add_f32_e32 v28, v39, v36
	s_delay_alu instid0(VALU_DEP_3) | instskip(NEXT) | instid1(VALU_DEP_4)
	v_dual_add_f32 v31, v38, v64 :: v_dual_add_f32 v30, v40, v30
	v_lshlrev_b32_e32 v36, 3, v41
	ds_store_2addr_b64 v36, v[30:31], v[28:29] offset1:39
	ds_store_b64 v36, v[107:108] offset:624
.LBB0_15:
	s_wait_alu 0xfffe
	s_or_b32 exec_lo, exec_lo, s1
	v_mad_co_u64_u32 v[40:41], null, 0x50, v114, s[2:3]
	global_wb scope:SCOPE_SE
	s_wait_dscnt 0x0
	s_barrier_signal -1
	s_barrier_wait -1
	global_inv scope:SCOPE_SE
	s_add_nc_u64 s[2:3], s[16:17], 0x2838
	s_clause 0x4
	global_load_b128 v[56:59], v[40:41], off offset:912
	global_load_b128 v[52:55], v[40:41], off offset:928
	;; [unrolled: 1-line block ×5, first 2 shown]
	v_add_nc_u32_e32 v69, 0x400, v113
	ds_load_2addr_b64 v[60:63], v113 offset1:117
	v_add_nc_u32_e32 v64, 0x1c00, v113
	ds_load_2addr_b64 v[76:79], v69 offset0:106 offset1:223
	s_wait_loadcnt_dscnt 0x400
	v_dual_mul_f32 v132, v76, v59 :: v_dual_add_nc_u32 v65, 0xc00, v113
	ds_load_2addr_b64 v[80:83], v65 offset0:84 offset1:201
	v_add_nc_u32_e32 v68, 0x1400, v113
	v_dual_mul_f32 v131, v62, v57 :: v_dual_mul_f32 v74, v77, v59
	v_fmac_f32_e32 v132, v77, v58
	s_delay_alu instid0(VALU_DEP_2)
	v_fma_f32 v76, v76, v58, -v74
	s_wait_loadcnt_dscnt 0x300
	v_mul_f32_e32 v136, v80, v55
	v_mul_f32_e32 v135, v81, v55
	ds_load_2addr_b64 v[109:112], v68 offset0:62 offset1:179
	ds_load_2addr_b64 v[125:128], v64 offset0:40 offset1:157
	ds_load_b64 v[129:130], v113 offset:9360
	v_mul_f32_e32 v72, v63, v57
	v_mul_f32_e32 v133, v79, v53
	v_dual_mul_f32 v134, v78, v53 :: v_dual_fmac_f32 v131, v63, v56
	s_wait_loadcnt 0x2
	v_mul_f32_e32 v137, v83, v37
	s_delay_alu instid0(VALU_DEP_2)
	v_dual_mul_f32 v75, v82, v37 :: v_dual_fmac_f32 v134, v79, v52
	s_wait_dscnt 0x2
	v_mul_f32_e32 v73, v109, v39
	s_wait_loadcnt_dscnt 0x101
	v_dual_mul_f32 v66, v125, v31 :: v_dual_mul_f32 v139, v112, v29
	s_wait_loadcnt_dscnt 0x0
	v_dual_mul_f32 v142, v130, v43 :: v_dual_mul_f32 v67, v111, v29
	v_dual_mul_f32 v140, v126, v31 :: v_dual_mul_f32 v141, v128, v41
	v_dual_mul_f32 v70, v127, v41 :: v_dual_fmac_f32 v73, v110, v38
	v_mul_f32_e32 v71, v129, v43
	v_fma_f32 v143, v62, v56, -v72
	v_mul_f32_e32 v138, v110, v39
	v_fma_f32 v77, v78, v52, -v133
	v_fma_f32 v78, v80, v54, -v135
	v_dual_fmac_f32 v136, v81, v54 :: v_dual_fmac_f32 v75, v83, v36
	v_fma_f32 v79, v82, v36, -v137
	v_fma_f32 v74, v111, v28, -v139
	v_dual_fmac_f32 v67, v112, v28 :: v_dual_fmac_f32 v66, v126, v30
	v_fma_f32 v72, v125, v30, -v140
	v_fma_f32 v63, v127, v40, -v141
	;; [unrolled: 1-line block ×3, first 2 shown]
	v_dual_fmac_f32 v71, v130, v42 :: v_dual_fmac_f32 v70, v128, v40
	v_add_f32_e32 v81, v60, v143
	s_delay_alu instid0(VALU_DEP_3)
	v_dual_add_f32 v82, v61, v131 :: v_dual_add_f32 v83, v143, v62
	v_fma_f32 v80, v109, v38, -v138
	v_sub_f32_e32 v110, v143, v62
	v_dual_sub_f32 v111, v131, v71 :: v_dual_sub_f32 v130, v77, v72
	v_dual_add_f32 v112, v76, v63 :: v_dual_add_f32 v129, v134, v66
	v_sub_f32_e32 v126, v76, v63
	v_dual_sub_f32 v127, v132, v70 :: v_dual_sub_f32 v142, v75, v73
	v_dual_add_f32 v133, v78, v74 :: v_dual_sub_f32 v138, v136, v67
	v_dual_add_f32 v135, v136, v67 :: v_dual_add_f32 v76, v81, v76
	v_sub_f32_e32 v137, v78, v74
	v_dual_add_f32 v81, v82, v132 :: v_dual_mul_f32 v146, 0xbf7d64f0, v110
	v_dual_add_f32 v109, v131, v71 :: v_dual_add_f32 v128, v77, v72
	v_dual_add_f32 v125, v132, v70 :: v_dual_add_f32 v140, v75, v73
	v_sub_f32_e32 v131, v134, v66
	v_dual_add_f32 v139, v79, v80 :: v_dual_mul_f32 v132, 0xbf0a6770, v110
	v_dual_sub_f32 v141, v79, v80 :: v_dual_mul_f32 v144, 0xbf68dda4, v110
	v_mul_f32_e32 v82, 0xbf0a6770, v111
	v_dual_mul_f32 v143, 0xbf68dda4, v111 :: v_dual_mul_f32 v150, 0xbf68dda4, v126
	v_dual_mul_f32 v145, 0xbf7d64f0, v111 :: v_dual_mul_f32 v158, 0xbf7d64f0, v130
	;; [unrolled: 1-line block ×4, first 2 shown]
	v_dual_mul_f32 v149, 0xbf68dda4, v127 :: v_dual_add_f32 v76, v76, v77
	v_dual_mul_f32 v165, 0xbf4178ce, v138 :: v_dual_mul_f32 v166, 0xbf4178ce, v137
	v_dual_mul_f32 v167, 0x3f7d64f0, v138 :: v_dual_mul_f32 v168, 0x3f7d64f0, v137
	;; [unrolled: 1-line block ×5, first 2 shown]
	v_add_f32_e32 v77, v81, v134
	v_dual_mul_f32 v151, 0xbf4178ce, v127 :: v_dual_mul_f32 v152, 0xbf4178ce, v126
	v_dual_mul_f32 v153, 0x3e903f40, v127 :: v_dual_mul_f32 v154, 0x3e903f40, v126
	;; [unrolled: 1-line block ×4, first 2 shown]
	v_mul_f32_e32 v157, 0xbf7d64f0, v131
	v_dual_mul_f32 v159, 0x3e903f40, v131 :: v_dual_mul_f32 v160, 0x3e903f40, v130
	v_dual_mul_f32 v161, 0x3f68dda4, v131 :: v_dual_mul_f32 v162, 0x3f68dda4, v130
	v_dual_mul_f32 v163, 0xbf0a6770, v131 :: v_dual_mul_f32 v164, 0xbf0a6770, v130
	v_dual_mul_f32 v131, 0xbf4178ce, v131 :: v_dual_mul_f32 v130, 0xbf4178ce, v130
	v_dual_mul_f32 v173, 0xbe903f40, v142 :: v_dual_mul_f32 v174, 0xbe903f40, v141
	v_dual_mul_f32 v175, 0x3f0a6770, v142 :: v_dual_mul_f32 v176, 0x3f0a6770, v141
	v_dual_mul_f32 v177, 0xbf4178ce, v142 :: v_dual_mul_f32 v178, 0xbf4178ce, v141
	v_dual_mul_f32 v179, 0x3f68dda4, v142 :: v_dual_mul_f32 v180, 0x3f68dda4, v141
	v_dual_mul_f32 v142, 0xbf7d64f0, v142 :: v_dual_mul_f32 v141, 0xbf7d64f0, v141
	v_add_f32_e32 v76, v76, v78
	v_fma_f32 v81, 0x3f575c64, v83, -v82
	v_fmamk_f32 v134, v109, 0x3f575c64, v132
	v_fmac_f32_e32 v82, 0x3f575c64, v83
	v_fma_f32 v132, 0x3f575c64, v109, -v132
	v_fma_f32 v181, 0x3ed4b147, v83, -v143
	v_dual_fmamk_f32 v182, v109, 0x3ed4b147, v144 :: v_dual_fmac_f32 v143, 0x3ed4b147, v83
	v_fma_f32 v144, 0x3ed4b147, v109, -v144
	v_fma_f32 v183, 0xbe11bafb, v83, -v145
	v_dual_fmamk_f32 v184, v109, 0xbe11bafb, v146 :: v_dual_fmac_f32 v145, 0xbe11bafb, v83
	;; [unrolled: 3-line block ×4, first 2 shown]
	v_fma_f32 v83, 0xbf75a155, v109, -v110
	v_dual_fmamk_f32 v212, v135, 0x3ed4b147, v137 :: v_dual_add_f32 v77, v77, v136
	v_fma_f32 v109, 0x3ed4b147, v112, -v149
	v_dual_fmamk_f32 v110, v125, 0x3ed4b147, v150 :: v_dual_fmac_f32 v149, 0x3ed4b147, v112
	v_fma_f32 v150, 0x3ed4b147, v125, -v150
	v_fma_f32 v189, 0xbf27a4f4, v112, -v151
	v_dual_fmamk_f32 v190, v125, 0xbf27a4f4, v152 :: v_dual_fmac_f32 v151, 0xbf27a4f4, v112
	v_fma_f32 v152, 0xbf27a4f4, v125, -v152
	v_fma_f32 v191, 0xbf75a155, v112, -v153
	v_dual_fmamk_f32 v192, v125, 0xbf75a155, v154 :: v_dual_fmac_f32 v153, 0xbf75a155, v112
	v_fma_f32 v154, 0xbf75a155, v125, -v154
	v_fma_f32 v193, 0xbe11bafb, v112, -v155
	v_dual_fmamk_f32 v194, v125, 0xbe11bafb, v156 :: v_dual_fmac_f32 v155, 0xbe11bafb, v112
	v_fma_f32 v156, 0xbe11bafb, v125, -v156
	v_fma_f32 v195, 0x3f575c64, v112, -v127
	v_dual_fmamk_f32 v196, v125, 0x3f575c64, v126 :: v_dual_fmac_f32 v127, 0x3f575c64, v112
	v_fma_f32 v112, 0x3f575c64, v125, -v126
	v_fma_f32 v125, 0xbe11bafb, v128, -v157
	v_dual_fmamk_f32 v126, v129, 0xbe11bafb, v158 :: v_dual_fmac_f32 v157, 0xbe11bafb, v128
	v_fma_f32 v158, 0xbe11bafb, v129, -v158
	v_fma_f32 v197, 0xbf75a155, v128, -v159
	v_dual_fmamk_f32 v198, v129, 0xbf75a155, v160 :: v_dual_fmac_f32 v159, 0xbf75a155, v128
	v_fma_f32 v160, 0xbf75a155, v129, -v160
	v_fma_f32 v199, 0x3ed4b147, v128, -v161
	v_dual_fmamk_f32 v200, v129, 0x3ed4b147, v162 :: v_dual_fmac_f32 v161, 0x3ed4b147, v128
	v_fma_f32 v162, 0x3ed4b147, v129, -v162
	v_fma_f32 v201, 0x3f575c64, v128, -v163
	v_dual_fmamk_f32 v202, v129, 0x3f575c64, v164 :: v_dual_fmac_f32 v163, 0x3f575c64, v128
	v_fma_f32 v164, 0x3f575c64, v129, -v164
	v_fma_f32 v203, 0xbf27a4f4, v128, -v131
	v_dual_fmamk_f32 v204, v129, 0xbf27a4f4, v130 :: v_dual_fmac_f32 v131, 0xbf27a4f4, v128
	v_fma_f32 v128, 0xbf27a4f4, v129, -v130
	v_fma_f32 v129, 0xbf27a4f4, v133, -v165
	v_dual_fmamk_f32 v130, v135, 0xbf27a4f4, v166 :: v_dual_fmac_f32 v165, 0xbf27a4f4, v133
	v_fma_f32 v166, 0xbf27a4f4, v135, -v166
	v_fma_f32 v205, 0xbe11bafb, v133, -v167
	v_dual_fmamk_f32 v206, v135, 0xbe11bafb, v168 :: v_dual_fmac_f32 v167, 0xbe11bafb, v133
	v_fma_f32 v168, 0xbe11bafb, v135, -v168
	v_fma_f32 v207, 0x3f575c64, v133, -v169
	v_dual_fmamk_f32 v208, v135, 0x3f575c64, v170 :: v_dual_fmac_f32 v169, 0x3f575c64, v133
	v_fma_f32 v170, 0x3f575c64, v135, -v170
	v_fma_f32 v209, 0xbf75a155, v133, -v171
	v_dual_fmamk_f32 v210, v135, 0xbf75a155, v172 :: v_dual_fmac_f32 v171, 0xbf75a155, v133
	v_fma_f32 v172, 0xbf75a155, v135, -v172
	v_fma_f32 v211, 0x3ed4b147, v133, -v138
	v_fmac_f32_e32 v138, 0x3ed4b147, v133
	v_fma_f32 v133, 0x3ed4b147, v135, -v137
	v_fma_f32 v135, 0xbf75a155, v139, -v173
	v_dual_fmamk_f32 v137, v140, 0xbf75a155, v174 :: v_dual_add_f32 v132, v61, v132
	v_dual_fmac_f32 v173, 0xbf75a155, v139 :: v_dual_add_f32 v78, v60, v81
	v_fma_f32 v174, 0xbf75a155, v140, -v174
	v_fma_f32 v213, 0x3f575c64, v139, -v175
	v_dual_fmamk_f32 v214, v140, 0x3f575c64, v176 :: v_dual_add_f32 v81, v61, v134
	v_fmac_f32_e32 v175, 0x3f575c64, v139
	v_fma_f32 v176, 0x3f575c64, v140, -v176
	v_fma_f32 v215, 0xbf27a4f4, v139, -v177
	v_dual_fmamk_f32 v216, v140, 0xbf27a4f4, v178 :: v_dual_fmac_f32 v177, 0xbf27a4f4, v139
	v_fma_f32 v178, 0xbf27a4f4, v140, -v178
	v_fma_f32 v217, 0x3ed4b147, v139, -v179
	v_dual_fmamk_f32 v218, v140, 0x3ed4b147, v180 :: v_dual_fmac_f32 v179, 0x3ed4b147, v139
	v_fma_f32 v180, 0x3ed4b147, v140, -v180
	v_fma_f32 v219, 0xbe11bafb, v139, -v142
	v_fmamk_f32 v220, v140, 0xbe11bafb, v141
	v_dual_fmac_f32 v142, 0xbe11bafb, v139 :: v_dual_add_f32 v145, v60, v145
	v_fma_f32 v139, 0xbe11bafb, v140, -v141
	v_dual_add_f32 v82, v60, v82 :: v_dual_add_f32 v75, v77, v75
	v_dual_add_f32 v134, v60, v181 :: v_dual_add_f32 v77, v109, v78
	v_add_f32_e32 v136, v61, v182
	v_dual_add_f32 v140, v60, v143 :: v_dual_add_f32 v141, v61, v144
	v_dual_add_f32 v143, v60, v183 :: v_dual_add_f32 v144, v61, v184
	;; [unrolled: 1-line block ×5, first 2 shown]
	v_add_f32_e32 v184, v61, v188
	v_add_f32_e32 v61, v61, v83
	v_dual_add_f32 v76, v76, v79 :: v_dual_add_f32 v83, v190, v136
	v_dual_add_f32 v60, v60, v111 :: v_dual_add_f32 v79, v149, v82
	;; [unrolled: 1-line block ×6, first 2 shown]
	v_add_f32_e32 v134, v153, v145
	v_dual_add_f32 v136, v154, v146 :: v_dual_add_f32 v61, v112, v61
	v_dual_add_f32 v143, v155, v147 :: v_dual_add_f32 v144, v156, v148
	v_add_f32_e32 v75, v125, v77
	v_dual_add_f32 v145, v195, v183 :: v_dual_add_f32 v76, v76, v80
	v_dual_add_f32 v140, v193, v181 :: v_dual_add_f32 v141, v194, v182
	;; [unrolled: 3-line block ×3, first 2 shown]
	v_dual_add_f32 v79, v158, v81 :: v_dual_add_f32 v80, v197, v82
	v_add_f32_e32 v127, v163, v143
	v_dual_add_f32 v81, v198, v83 :: v_dual_add_f32 v82, v159, v109
	v_add_f32_e32 v83, v160, v110
	v_add_f32_e32 v109, v199, v111
	v_dual_add_f32 v111, v161, v134 :: v_dual_add_f32 v110, v200, v132
	v_dual_add_f32 v67, v73, v67 :: v_dual_add_f32 v112, v162, v136
	;; [unrolled: 1-line block ×3, first 2 shown]
	v_add_f32_e32 v75, v130, v77
	v_dual_add_f32 v134, v203, v145 :: v_dual_add_f32 v77, v166, v79
	v_dual_add_f32 v74, v76, v74 :: v_dual_add_f32 v111, v169, v111
	;; [unrolled: 1-line block ×5, first 2 shown]
	v_add_f32_e32 v78, v205, v80
	s_delay_alu instid0(VALU_DEP_4)
	v_dual_add_f32 v80, v167, v82 :: v_dual_add_f32 v125, v209, v125
	v_dual_add_f32 v112, v170, v112 :: v_dual_add_f32 v129, v211, v134
	v_add_f32_e32 v128, v172, v132
	v_dual_add_f32 v132, v133, v61 :: v_dual_add_f32 v133, v74, v72
	v_add_f32_e32 v134, v67, v66
	v_dual_add_f32 v60, v131, v60 :: v_dual_add_f32 v81, v168, v83
	v_dual_add_f32 v82, v207, v109 :: v_dual_add_f32 v83, v208, v110
	v_add_f32_e32 v109, v173, v76
	s_delay_alu instid0(VALU_DEP_3)
	v_add_f32_e32 v131, v138, v60
	v_dual_add_f32 v110, v174, v77 :: v_dual_add_f32 v63, v133, v63
	v_dual_add_f32 v66, v175, v80 :: v_dual_add_f32 v77, v134, v70
	;; [unrolled: 1-line block ×3, first 2 shown]
	v_add_f32_e32 v130, v212, v136
	v_dual_add_f32 v60, v135, v73 :: v_dual_add_f32 v75, v216, v83
	v_add_f32_e32 v70, v219, v129
	v_dual_add_f32 v62, v63, v62 :: v_dual_add_f32 v63, v77, v71
	v_dual_add_f32 v72, v213, v78 :: v_dual_add_f32 v67, v176, v81
	;; [unrolled: 1-line block ×4, first 2 shown]
	v_add_f32_e32 v83, v139, v132
	v_dual_add_f32 v79, v218, v126 :: v_dual_add_f32 v76, v177, v111
	v_dual_add_f32 v71, v220, v130 :: v_dual_add_f32 v80, v179, v127
	v_add_f32_e32 v77, v178, v112
	v_add_f32_e32 v82, v142, v131
	ds_store_2addr_b64 v113, v[62:63], v[60:61] offset1:117
	ds_store_2addr_b64 v69, v[72:73], v[74:75] offset0:106 offset1:223
	ds_store_2addr_b64 v65, v[78:79], v[70:71] offset0:84 offset1:201
	;; [unrolled: 1-line block ×4, first 2 shown]
	ds_store_b64 v113, v[109:110] offset:9360
	global_wb scope:SCOPE_SE
	s_wait_dscnt 0x0
	s_barrier_signal -1
	s_barrier_wait -1
	global_inv scope:SCOPE_SE
	s_clause 0x8
	global_load_b64 v[60:61], v[85:86], off offset:10296
	global_load_b64 v[81:82], v113, s[2:3] offset:936
	global_load_b64 v[111:112], v113, s[2:3] offset:8736
	;; [unrolled: 1-line block ×8, first 2 shown]
	ds_load_2addr_b64 v[69:72], v113 offset1:117
	ds_load_b64 v[141:142], v113 offset:8736
	s_wait_loadcnt_dscnt 0x701
	v_mul_f32_e32 v63, v72, v82
	s_wait_loadcnt_dscnt 0x600
	v_mul_f32_e32 v83, v142, v112
	v_mul_f32_e32 v62, v70, v61
	;; [unrolled: 1-line block ×3, first 2 shown]
	v_add_nc_u32_e32 v61, 0x1800, v113
	s_delay_alu instid0(VALU_DEP_3) | instskip(NEXT) | instid1(VALU_DEP_3)
	v_fma_f32 v73, v69, v60, -v62
	v_fmac_f32_e32 v74, v70, v60
	v_add_nc_u32_e32 v62, 0x600, v113
	v_add_nc_u32_e32 v60, 0x1000, v113
	v_fma_f32 v69, v71, v81, -v63
	ds_store_b64 v113, v[73:74]
	ds_load_2addr_b64 v[73:76], v62 offset0:42 offset1:237
	ds_load_2addr_b64 v[77:80], v61 offset0:90 offset1:207
	;; [unrolled: 1-line block ×3, first 2 shown]
	v_mul_f32_e32 v70, v71, v82
	v_mul_f32_e32 v82, v141, v112
	s_wait_loadcnt_dscnt 0x502
	s_delay_alu instid0(VALU_DEP_1)
	v_dual_fmac_f32 v82, v142, v111 :: v_dual_mul_f32 v63, v76, v130
	s_wait_loadcnt_dscnt 0x401
	v_mul_f32_e32 v112, v77, v132
	s_wait_loadcnt_dscnt 0x0
	v_mul_f32_e32 v143, v128, v140
	v_fmac_f32_e32 v70, v72, v81
	v_fma_f32 v81, v141, v111, -v83
	v_mul_f32_e32 v72, v75, v130
	v_mul_f32_e32 v141, v126, v134
	v_dual_mul_f32 v130, v125, v134 :: v_dual_mul_f32 v83, v78, v132
	v_mul_f32_e32 v142, v80, v136
	v_mul_f32_e32 v132, v79, v136
	;; [unrolled: 1-line block ×5, first 2 shown]
	v_fma_f32 v71, v75, v129, -v63
	v_fmac_f32_e32 v72, v76, v129
	v_fma_f32 v129, v125, v133, -v141
	v_fmac_f32_e32 v130, v126, v133
	;; [unrolled: 2-line block ×6, first 2 shown]
	ds_store_2addr_b64 v65, v[71:72], v[129:130] offset0:45 offset1:162
	ds_store_2addr_b64 v113, v[69:70], v[133:134] offset0:117 offset1:234
	;; [unrolled: 1-line block ×4, first 2 shown]
	s_and_saveexec_b32 s1, vcc_lo
	s_cbranch_execz .LBB0_17
; %bb.16:
	s_wait_alu 0xfffe
	v_add_co_u32 v63, s2, s2, v113
	s_wait_alu 0xf1ff
	v_add_co_ci_u32_e64 v64, null, s3, 0, s2
	s_clause 0x2
	global_load_b64 v[68:69], v[63:64], off offset:2808
	global_load_b64 v[70:71], v[63:64], off offset:6240
	global_load_b64 v[63:64], v[63:64], off offset:9672
	ds_load_b64 v[72:73], v113 offset:2808
	ds_load_b64 v[74:75], v113 offset:6240
	;; [unrolled: 1-line block ×3, first 2 shown]
	s_wait_loadcnt_dscnt 0x101
	v_dual_mul_f32 v78, v73, v69 :: v_dual_mul_f32 v79, v75, v71
	s_wait_loadcnt_dscnt 0x0
	v_dual_mul_f32 v65, v72, v69 :: v_dual_mul_f32 v80, v77, v64
	v_mul_f32_e32 v69, v74, v71
	v_mul_f32_e32 v71, v76, v64
	v_fma_f32 v64, v72, v68, -v78
	s_delay_alu instid0(VALU_DEP_4)
	v_fmac_f32_e32 v65, v73, v68
	v_fma_f32 v68, v74, v70, -v79
	v_fmac_f32_e32 v69, v75, v70
	v_fma_f32 v70, v76, v63, -v80
	v_fmac_f32_e32 v71, v77, v63
	ds_store_b64 v113, v[64:65] offset:2808
	ds_store_b64 v113, v[68:69] offset:6240
	;; [unrolled: 1-line block ×3, first 2 shown]
.LBB0_17:
	s_wait_alu 0xfffe
	s_or_b32 exec_lo, exec_lo, s1
	global_wb scope:SCOPE_SE
	s_wait_dscnt 0x0
	s_barrier_signal -1
	s_barrier_wait -1
	global_inv scope:SCOPE_SE
	ds_load_2addr_b64 v[72:75], v113 offset1:117
	ds_load_2addr_b64 v[68:71], v62 offset0:42 offset1:237
	ds_load_2addr_b64 v[62:65], v61 offset0:90 offset1:207
	;; [unrolled: 1-line block ×3, first 2 shown]
	ds_load_b64 v[111:112], v113 offset:8736
	s_and_saveexec_b32 s1, vcc_lo
	s_cbranch_execz .LBB0_19
; %bb.18:
	ds_load_b64 v[66:67], v113 offset:2808
	ds_load_b64 v[109:110], v113 offset:6240
	;; [unrolled: 1-line block ×3, first 2 shown]
.LBB0_19:
	s_wait_alu 0xfffe
	s_or_b32 exec_lo, exec_lo, s1
	s_wait_dscnt 0x2
	v_dual_add_f32 v60, v70, v62 :: v_dual_add_f32 v77, v71, v63
	v_dual_add_f32 v61, v72, v70 :: v_dual_sub_f32 v78, v71, v63
	v_dual_add_f32 v71, v73, v71 :: v_dual_sub_f32 v70, v70, v62
	s_delay_alu instid0(VALU_DEP_3) | instskip(NEXT) | instid1(VALU_DEP_3)
	v_fma_f32 v76, -0.5, v60, v72
	v_add_f32_e32 v60, v61, v62
	v_fma_f32 v77, -0.5, v77, v73
	s_delay_alu instid0(VALU_DEP_4) | instskip(SKIP_2) | instid1(VALU_DEP_3)
	v_add_f32_e32 v61, v71, v63
	s_wait_dscnt 0x1
	v_dual_add_f32 v71, v79, v64 :: v_dual_fmamk_f32 v62, v78, 0xbf5db3d7, v76
	v_dual_fmac_f32 v76, 0x3f5db3d7, v78 :: v_dual_fmamk_f32 v63, v70, 0x3f5db3d7, v77
	v_dual_add_f32 v72, v74, v79 :: v_dual_fmac_f32 v77, 0xbf5db3d7, v70
	v_dual_add_f32 v70, v80, v65 :: v_dual_add_f32 v73, v75, v80
	s_delay_alu instid0(VALU_DEP_4) | instskip(SKIP_1) | instid1(VALU_DEP_3)
	v_fma_f32 v74, -0.5, v71, v74
	v_sub_f32_e32 v71, v80, v65
	v_dual_add_f32 v78, v72, v64 :: v_dual_fmac_f32 v75, -0.5, v70
	s_delay_alu instid0(VALU_DEP_4) | instskip(SKIP_1) | instid1(VALU_DEP_3)
	v_dual_sub_f32 v64, v79, v64 :: v_dual_add_f32 v79, v73, v65
	s_wait_dscnt 0x0
	v_dual_fmamk_f32 v72, v71, 0xbf5db3d7, v74 :: v_dual_add_f32 v65, v81, v111
	v_add_f32_e32 v70, v68, v81
	s_delay_alu instid0(VALU_DEP_3)
	v_dual_fmac_f32 v74, 0x3f5db3d7, v71 :: v_dual_fmamk_f32 v73, v64, 0x3f5db3d7, v75
	v_fmac_f32_e32 v75, 0xbf5db3d7, v64
	v_add_f32_e32 v64, v82, v112
	v_fma_f32 v68, -0.5, v65, v68
	v_sub_f32_e32 v65, v82, v112
	v_add_f32_e32 v80, v70, v111
	v_add_f32_e32 v70, v69, v82
	;; [unrolled: 1-line block ×3, first 2 shown]
	global_wb scope:SCOPE_SE
	v_fmamk_f32 v82, v65, 0xbf5db3d7, v68
	v_dual_fmac_f32 v68, 0x3f5db3d7, v65 :: v_dual_add_f32 v65, v109, v107
	v_dual_fmac_f32 v69, -0.5, v64 :: v_dual_sub_f32 v64, v81, v111
	v_add_f32_e32 v81, v70, v112
	v_add_f32_e32 v70, v66, v109
	s_delay_alu instid0(VALU_DEP_4) | instskip(NEXT) | instid1(VALU_DEP_4)
	v_dual_fmac_f32 v66, -0.5, v65 :: v_dual_sub_f32 v65, v110, v108
	v_fmamk_f32 v83, v64, 0x3f5db3d7, v69
	v_fmac_f32_e32 v69, 0xbf5db3d7, v64
	v_dual_add_f32 v64, v110, v108 :: v_dual_sub_f32 v109, v109, v107
	v_dual_add_f32 v70, v70, v107 :: v_dual_add_f32 v71, v71, v108
	s_barrier_signal -1
	s_delay_alu instid0(VALU_DEP_2)
	v_dual_fmac_f32 v67, -0.5, v64 :: v_dual_fmamk_f32 v64, v65, 0xbf5db3d7, v66
	v_fmac_f32_e32 v66, 0x3f5db3d7, v65
	s_barrier_wait -1
	global_inv scope:SCOPE_SE
	v_fmamk_f32 v65, v109, 0x3f5db3d7, v67
	v_fmac_f32_e32 v67, 0xbf5db3d7, v109
	ds_store_2addr_b64 v120, v[60:61], v[62:63] offset1:1
	ds_store_b64 v120, v[76:77] offset:16
	ds_store_2addr_b64 v119, v[78:79], v[72:73] offset1:1
	ds_store_b64 v119, v[74:75] offset:16
	;; [unrolled: 2-line block ×3, first 2 shown]
	s_and_saveexec_b32 s1, vcc_lo
	s_cbranch_execz .LBB0_21
; %bb.20:
	v_lshlrev_b32_e32 v107, 3, v118
	ds_store_2addr_b64 v107, v[70:71], v[64:65] offset1:1
	ds_store_b64 v107, v[66:67] offset:16
.LBB0_21:
	s_wait_alu 0xfffe
	s_or_b32 exec_lo, exec_lo, s1
	global_wb scope:SCOPE_SE
	s_wait_dscnt 0x0
	s_barrier_signal -1
	s_barrier_wait -1
	global_inv scope:SCOPE_SE
	s_and_saveexec_b32 s1, s0
	s_cbranch_execz .LBB0_23
; %bb.22:
	v_add_nc_u32_e32 v60, 0x1800, v113
	v_add_nc_u32_e32 v61, 0x1c00, v113
	v_add_nc_u32_e32 v62, 0x800, v113
	v_add_nc_u32_e32 v80, 0x1000, v113
	ds_load_2addr_b64 v[68:71], v60 offset0:24 offset1:123
	v_add_nc_u32_e32 v60, 0x400, v113
	ds_load_2addr_b64 v[64:67], v61 offset0:94 offset1:193
	ds_load_2addr_b64 v[72:75], v62 offset0:140 offset1:239
	;; [unrolled: 1-line block ×3, first 2 shown]
	ds_load_2addr_b64 v[60:63], v113 offset1:99
	ds_load_b64 v[105:106], v113 offset:9504
	ds_load_2addr_b64 v[80:83], v80 offset0:82 offset1:181
.LBB0_23:
	s_wait_alu 0xfffe
	s_or_b32 exec_lo, exec_lo, s1
	s_wait_dscnt 0x2
	v_dual_mul_f32 v107, v21, v63 :: v_dual_mul_f32 v108, v23, v77
	v_dual_mul_f32 v21, v21, v62 :: v_dual_mul_f32 v110, v23, v76
	v_mul_f32_e32 v23, v17, v79
	v_mul_f32_e32 v17, v17, v78
	s_delay_alu instid0(VALU_DEP_4) | instskip(NEXT) | instid1(VALU_DEP_4)
	v_dual_fmac_f32 v107, v20, v62 :: v_dual_fmac_f32 v108, v22, v76
	v_fma_f32 v109, v20, v63, -v21
	v_mul_f32_e32 v62, v19, v73
	v_fma_f32 v76, v22, v77, -v110
	v_fma_f32 v63, v16, v79, -v17
	v_mul_f32_e32 v22, v13, v75
	v_mul_f32_e32 v17, v13, v74
	s_wait_dscnt 0x0
	v_mul_f32_e32 v13, v15, v81
	v_mul_f32_e32 v15, v15, v80
	v_dual_fmac_f32 v23, v16, v78 :: v_dual_fmac_f32 v62, v18, v72
	v_mul_f32_e32 v16, v19, v72
	s_delay_alu instid0(VALU_DEP_4) | instskip(NEXT) | instid1(VALU_DEP_4)
	v_dual_fmac_f32 v22, v12, v74 :: v_dual_fmac_f32 v13, v14, v80
	v_fma_f32 v72, v14, v81, -v15
	v_mul_f32_e32 v14, v3, v69
	v_fma_f32 v74, v12, v75, -v17
	v_mul_f32_e32 v12, v1, v83
	v_mul_f32_e32 v1, v1, v82
	;; [unrolled: 1-line block ×3, first 2 shown]
	v_dual_mul_f32 v15, v9, v71 :: v_dual_fmac_f32 v14, v2, v68
	s_delay_alu instid0(VALU_DEP_4) | instskip(NEXT) | instid1(VALU_DEP_4)
	v_fmac_f32_e32 v12, v0, v82
	v_fma_f32 v75, v0, v83, -v1
	v_mul_f32_e32 v0, v7, v105
	v_mul_f32_e32 v7, v7, v106
	v_fma_f32 v68, v2, v69, -v3
	v_fmac_f32_e32 v15, v8, v70
	v_mul_f32_e32 v69, v11, v65
	v_fma_f32 v73, v18, v73, -v16
	v_fmac_f32_e32 v7, v6, v105
	v_mul_f32_e32 v1, v9, v70
	v_fma_f32 v9, v6, v106, -v0
	v_mul_f32_e32 v0, v11, v64
	v_dual_mul_f32 v6, v5, v67 :: v_dual_fmac_f32 v69, v10, v64
	global_wb scope:SCOPE_SE
	v_add_f32_e32 v80, v9, v109
	v_sub_f32_e32 v70, v109, v9
	v_fma_f32 v64, v10, v65, -v0
	s_barrier_signal -1
	s_barrier_wait -1
	v_mul_f32_e32 v126, 0x3df6dbef, v80
	v_mul_f32_e32 v82, 0xbf52af12, v70
	v_add_f32_e32 v0, v7, v107
	v_fma_f32 v11, v8, v71, -v1
	v_dual_mul_f32 v2, v5, v66 :: v_dual_sub_f32 v1, v107, v7
	v_dual_mul_f32 v136, 0xbeb58ec6, v80 :: v_dual_add_f32 v111, v64, v63
	s_delay_alu instid0(VALU_DEP_4) | instskip(SKIP_1) | instid1(VALU_DEP_4)
	v_fma_f32 v3, 0x3f116cb1, v0, -v82
	v_mul_f32_e32 v117, 0xbf7e222b, v70
	v_fma_f32 v65, v4, v67, -v2
	v_fmamk_f32 v5, v1, 0xbf7e222b, v126
	v_fmac_f32_e32 v6, v4, v66
	v_add_f32_e32 v4, v60, v3
	v_fma_f32 v3, 0x3df6dbef, v0, -v117
	v_mul_f32_e32 v132, 0xbf6f5d39, v70
	v_dual_sub_f32 v78, v76, v65 :: v_dual_add_f32 v83, v65, v76
	s_delay_alu instid0(VALU_DEP_3) | instskip(SKIP_2) | instid1(VALU_DEP_4)
	v_dual_sub_f32 v79, v63, v64 :: v_dual_add_f32 v10, v60, v3
	v_fmamk_f32 v3, v1, 0xbf6f5d39, v136
	v_dual_mul_f32 v106, 0x3f116cb1, v80 :: v_dual_add_f32 v5, v61, v5
	v_mul_f32_e32 v110, 0xbf6f5d39, v78
	v_mul_f32_e32 v120, 0xbeb58ec6, v83
	s_delay_alu instid0(VALU_DEP_4) | instskip(NEXT) | instid1(VALU_DEP_4)
	v_add_f32_e32 v17, v61, v3
	v_dual_fmamk_f32 v2, v1, 0xbf52af12, v106 :: v_dual_sub_f32 v3, v108, v6
	v_mul_f32_e32 v129, 0xbe750f2a, v78
	v_mul_f32_e32 v133, 0xbf788fa5, v83
	s_delay_alu instid0(VALU_DEP_3) | instskip(SKIP_4) | instid1(VALU_DEP_4)
	v_dual_mul_f32 v145, 0xbf3f9e67, v83 :: v_dual_add_f32 v8, v61, v2
	v_fma_f32 v2, 0xbeb58ec6, v0, -v132
	v_fmamk_f32 v19, v3, 0xbf6f5d39, v120
	v_mul_f32_e32 v125, 0xbe750f2a, v79
	v_mul_f32_e32 v131, 0x3f6f5d39, v79
	v_dual_mul_f32 v127, 0xbf788fa5, v111 :: v_dual_add_f32 v16, v60, v2
	v_add_f32_e32 v2, v6, v108
	v_dual_add_f32 v8, v19, v8 :: v_dual_mul_f32 v147, 0x3f62ad3f, v111
	global_inv scope:SCOPE_SE
	v_add_f32_e32 v112, v11, v73
	v_fma_f32 v18, 0xbeb58ec6, v2, -v110
	v_mul_f32_e32 v137, 0x3f29c268, v78
	v_fma_f32 v20, 0xbf788fa5, v2, -v129
	s_delay_alu instid0(VALU_DEP_4) | instskip(NEXT) | instid1(VALU_DEP_4)
	v_dual_sub_f32 v81, v73, v11 :: v_dual_mul_f32 v134, 0xbf3f9e67, v112
	v_add_f32_e32 v18, v18, v4
	v_fmamk_f32 v4, v3, 0xbe750f2a, v133
	v_fma_f32 v21, 0xbf3f9e67, v2, -v137
	v_add_f32_e32 v10, v20, v10
	v_dual_mul_f32 v148, 0xbf7e222b, v81 :: v_dual_add_f32 v119, v68, v74
	s_delay_alu instid0(VALU_DEP_3) | instskip(SKIP_1) | instid1(VALU_DEP_3)
	v_dual_add_f32 v19, v4, v5 :: v_dual_add_f32 v16, v21, v16
	v_dual_add_f32 v4, v69, v23 :: v_dual_sub_f32 v5, v23, v69
	v_dual_mul_f32 v152, 0x3df6dbef, v112 :: v_dual_mul_f32 v139, 0x3df6dbef, v119
	v_mul_f32_e32 v154, 0xbf788fa5, v119
	s_delay_alu instid0(VALU_DEP_3) | instskip(SKIP_1) | instid1(VALU_DEP_1)
	v_fma_f32 v66, 0xbeb58ec6, v4, -v131
	v_fmamk_f32 v20, v3, 0x3f29c268, v145
	v_add_f32_e32 v17, v20, v17
	v_fma_f32 v20, 0xbf788fa5, v4, -v125
	v_fmamk_f32 v21, v5, 0xbe750f2a, v127
	s_delay_alu instid0(VALU_DEP_2) | instskip(NEXT) | instid1(VALU_DEP_2)
	v_dual_mul_f32 v143, 0x3eedf032, v79 :: v_dual_add_f32 v18, v20, v18
	v_dual_add_f32 v20, v21, v8 :: v_dual_add_f32 v21, v66, v10
	v_fmamk_f32 v66, v5, 0x3eedf032, v147
	v_mul_f32_e32 v140, 0xbeb58ec6, v111
	s_delay_alu instid0(VALU_DEP_4) | instskip(NEXT) | instid1(VALU_DEP_3)
	v_fma_f32 v8, 0x3f62ad3f, v4, -v143
	v_add_f32_e32 v17, v66, v17
	s_delay_alu instid0(VALU_DEP_2) | instskip(SKIP_1) | instid1(VALU_DEP_2)
	v_dual_fmamk_f32 v67, v5, 0x3f6f5d39, v140 :: v_dual_add_f32 v16, v8, v16
	v_add_f32_e32 v8, v15, v62
	v_dual_add_f32 v19, v67, v19 :: v_dual_mul_f32 v144, 0x3f62ad3f, v112
	v_mul_f32_e32 v138, 0x3eedf032, v81
	s_delay_alu instid0(VALU_DEP_1) | instskip(NEXT) | instid1(VALU_DEP_1)
	v_fma_f32 v77, 0x3f62ad3f, v8, -v138
	v_dual_sub_f32 v10, v62, v15 :: v_dual_add_f32 v21, v77, v21
	s_delay_alu instid0(VALU_DEP_1) | instskip(SKIP_1) | instid1(VALU_DEP_2)
	v_dual_mul_f32 v130, 0x3f29c268, v81 :: v_dual_fmamk_f32 v71, v10, 0x3f29c268, v134
	v_fmamk_f32 v105, v10, 0x3eedf032, v144
	v_fma_f32 v67, 0xbf3f9e67, v8, -v130
	s_delay_alu instid0(VALU_DEP_2) | instskip(NEXT) | instid1(VALU_DEP_2)
	v_dual_add_f32 v20, v71, v20 :: v_dual_add_f32 v19, v105, v19
	v_dual_sub_f32 v105, v74, v68 :: v_dual_add_f32 v18, v67, v18
	v_sub_f32_e32 v67, v22, v14
	v_fma_f32 v71, 0x3df6dbef, v8, -v148
	s_delay_alu instid0(VALU_DEP_3) | instskip(SKIP_4) | instid1(VALU_DEP_4)
	v_mul_f32_e32 v135, 0x3f7e222b, v105
	v_fmamk_f32 v77, v10, 0xbf7e222b, v152
	v_mul_f32_e32 v153, 0x3e750f2a, v105
	v_fmamk_f32 v128, v67, 0x3f7e222b, v139
	v_add_f32_e32 v16, v71, v16
	v_dual_add_f32 v66, v14, v22 :: v_dual_add_f32 v17, v77, v17
	v_fmamk_f32 v149, v67, 0x3e750f2a, v154
	v_mul_f32_e32 v150, 0x3f116cb1, v119
	s_delay_alu instid0(VALU_DEP_3) | instskip(SKIP_1) | instid1(VALU_DEP_4)
	v_fma_f32 v118, 0x3df6dbef, v66, -v135
	v_fma_f32 v146, 0xbf788fa5, v66, -v153
	v_add_f32_e32 v17, v149, v17
	s_delay_alu instid0(VALU_DEP_4) | instskip(NEXT) | instid1(VALU_DEP_3)
	v_dual_mul_f32 v142, 0xbf52af12, v105 :: v_dual_fmamk_f32 v77, v67, 0xbf52af12, v150
	v_add_f32_e32 v16, v146, v16
	s_delay_alu instid0(VALU_DEP_2)
	v_fma_f32 v71, 0x3f116cb1, v66, -v142
	v_add_f32_e32 v18, v118, v18
	v_sub_f32_e32 v118, v72, v75
	v_add_f32_e32 v157, v77, v19
	v_sub_f32_e32 v77, v13, v12
	v_add_f32_e32 v21, v71, v21
	v_add_f32_e32 v71, v12, v13
	v_dual_add_f32 v20, v128, v20 :: v_dual_mul_f32 v141, 0x3eedf032, v118
	v_dual_add_f32 v128, v75, v72 :: v_dual_mul_f32 v149, 0xbf29c268, v118
	v_mul_f32_e32 v155, 0x3f52af12, v118
	s_delay_alu instid0(VALU_DEP_3) | instskip(NEXT) | instid1(VALU_DEP_3)
	v_fma_f32 v19, 0x3f62ad3f, v71, -v141
	v_mul_f32_e32 v146, 0x3f62ad3f, v128
	v_mul_f32_e32 v151, 0xbf3f9e67, v128
	v_fma_f32 v158, 0xbf3f9e67, v71, -v149
	v_fma_f32 v160, 0x3f116cb1, v71, -v155
	s_delay_alu instid0(VALU_DEP_4) | instskip(NEXT) | instid1(VALU_DEP_4)
	v_dual_add_f32 v18, v19, v18 :: v_dual_fmamk_f32 v19, v77, 0x3eedf032, v146
	v_fmamk_f32 v159, v77, 0xbf29c268, v151
	v_mul_f32_e32 v156, 0x3f116cb1, v128
	s_delay_alu instid0(VALU_DEP_4) | instskip(NEXT) | instid1(VALU_DEP_4)
	v_add_f32_e32 v16, v160, v16
	v_dual_add_f32 v19, v19, v20 :: v_dual_add_f32 v20, v158, v21
	s_delay_alu instid0(VALU_DEP_4) | instskip(NEXT) | instid1(VALU_DEP_4)
	v_add_f32_e32 v21, v159, v157
	v_fmamk_f32 v161, v77, 0x3f52af12, v156
	s_delay_alu instid0(VALU_DEP_1)
	v_add_f32_e32 v17, v161, v17
	s_and_saveexec_b32 s1, s0
	s_cbranch_execz .LBB0_25
; %bb.24:
	v_dual_mul_f32 v168, 0xbe750f2a, v3 :: v_dual_mul_f32 v197, 0xbe750f2a, v70
	v_mul_f32_e32 v167, 0xbf788fa5, v2
	v_dual_mul_f32 v176, 0x3eedf032, v5 :: v_dual_mul_f32 v201, 0x3eedf032, v78
	v_mul_f32_e32 v209, 0x3df6dbef, v83
	v_mul_f32_e32 v164, 0xbf7e222b, v1
	v_fmamk_f32 v200, v0, 0xbf788fa5, v197
	v_mul_f32_e32 v165, 0xbeb58ec6, v2
	v_dual_mul_f32 v195, 0xbf29c268, v77 :: v_dual_mul_f32 v204, 0xbf29c268, v79
	s_delay_alu instid0(VALU_DEP_3) | instskip(SKIP_3) | instid1(VALU_DEP_4)
	v_dual_fmamk_f32 v203, v2, 0x3f62ad3f, v201 :: v_dual_add_f32 v200, v60, v200
	v_fmamk_f32 v211, v3, 0xbf7e222b, v209
	v_dual_mul_f32 v221, 0x3eedf032, v105 :: v_dual_sub_f32 v126, v126, v164
	v_mul_f32_e32 v181, 0x3df6dbef, v8
	v_dual_mul_f32 v183, 0x3df6dbef, v66 :: v_dual_add_f32 v200, v203, v200
	v_fmamk_f32 v203, v4, 0xbf3f9e67, v204
	v_mul_f32_e32 v206, 0x3f52af12, v81
	v_dual_mul_f32 v218, 0xbf52af12, v79 :: v_dual_sub_f32 v133, v133, v168
	v_dual_add_f32 v126, v61, v126 :: v_dual_mul_f32 v185, 0xbf788fa5, v80
	v_dual_mul_f32 v175, 0x3f62ad3f, v4 :: v_dual_mul_f32 v190, 0x3f62ad3f, v83
	v_dual_mul_f32 v189, 0x3e750f2a, v67 :: v_dual_add_f32 v200, v203, v200
	v_dual_mul_f32 v196, 0x3f116cb1, v71 :: v_dual_fmamk_f32 v203, v8, 0x3f116cb1, v206
	s_delay_alu instid0(VALU_DEP_4) | instskip(SKIP_4) | instid1(VALU_DEP_4)
	v_add_f32_e32 v126, v133, v126
	v_fmamk_f32 v157, v1, 0x3e750f2a, v185
	v_dual_mul_f32 v169, 0xbf3f9e67, v2 :: v_dual_mul_f32 v194, 0xbf3f9e67, v111
	v_fmamk_f32 v158, v3, 0xbeedf032, v190
	v_add_f32_e32 v200, v203, v200
	v_dual_mul_f32 v166, 0xbf6f5d39, v3 :: v_dual_add_f32 v157, v61, v157
	v_mul_f32_e32 v170, 0x3f29c268, v3
	v_mul_f32_e32 v198, 0x3f116cb1, v112
	v_dual_mul_f32 v159, 0xbeb58ec6, v0 :: v_dual_mul_f32 v202, 0xbeb58ec6, v119
	s_delay_alu instid0(VALU_DEP_4)
	v_dual_add_f32 v157, v158, v157 :: v_dual_fmamk_f32 v158, v5, 0x3f29c268, v194
	v_mul_f32_e32 v178, 0x3f29c268, v10
	v_mul_f32_e32 v205, 0x3df6dbef, v128
	;; [unrolled: 1-line block ×4, first 2 shown]
	v_add_f32_e32 v157, v158, v157
	v_fmamk_f32 v158, v10, 0xbf52af12, v198
	v_mul_f32_e32 v180, 0x3eedf032, v10
	v_fmamk_f32 v203, v66, 0xbeb58ec6, v208
	v_dual_mul_f32 v210, 0x3f7e222b, v118 :: v_dual_add_f32 v137, v169, v137
	s_delay_alu instid0(VALU_DEP_4) | instskip(SKIP_1) | instid1(VALU_DEP_4)
	v_dual_add_f32 v157, v158, v157 :: v_dual_fmamk_f32 v158, v67, 0x3f6f5d39, v202
	v_mul_f32_e32 v182, 0xbf7e222b, v10
	v_dual_mul_f32 v191, 0x3f62ad3f, v71 :: v_dual_add_f32 v200, v203, v200
	v_sub_f32_e32 v145, v145, v170
	s_delay_alu instid0(VALU_DEP_4)
	v_dual_add_f32 v157, v158, v157 :: v_dual_fmamk_f32 v158, v77, 0xbf7e222b, v205
	v_mul_f32_e32 v163, 0x3df6dbef, v0
	v_fmamk_f32 v203, v71, 0x3df6dbef, v210
	v_mul_f32_e32 v160, 0xbf6f5d39, v1
	v_dual_mul_f32 v213, 0xbf29c268, v70 :: v_dual_add_f32 v132, v159, v132
	v_dual_add_f32 v158, v158, v157 :: v_dual_fmamk_f32 v157, v1, 0x3f29c268, v207
	v_mul_f32_e32 v184, 0x3f7e222b, v67
	v_mul_f32_e32 v177, 0xbf3f9e67, v8
	s_delay_alu instid0(VALU_DEP_4) | instskip(SKIP_2) | instid1(VALU_DEP_3)
	v_add_f32_e32 v132, v60, v132
	v_mul_f32_e32 v220, 0x3e750f2a, v81
	v_dual_add_f32 v157, v61, v157 :: v_dual_mul_f32 v212, 0x3f116cb1, v111
	v_dual_add_f32 v129, v167, v129 :: v_dual_add_f32 v132, v137, v132
	v_add_f32_e32 v137, v175, v143
	s_delay_alu instid0(VALU_DEP_3)
	v_add_f32_e32 v211, v211, v157
	v_add_f32_e32 v157, v203, v200
	v_sub_f32_e32 v136, v136, v160
	v_fmamk_f32 v200, v0, 0xbf3f9e67, v213
	v_mul_f32_e32 v203, 0x3f7e222b, v78
	v_mul_f32_e32 v193, 0xbf3f9e67, v71
	s_delay_alu instid0(VALU_DEP_4) | instskip(NEXT) | instid1(VALU_DEP_4)
	v_dual_sub_f32 v143, v154, v189 :: v_dual_add_f32 v136, v61, v136
	v_dual_add_f32 v200, v60, v200 :: v_dual_mul_f32 v199, 0x3f52af12, v77
	v_fmamk_f32 v214, v5, 0x3f52af12, v212
	v_dual_mul_f32 v162, 0xbf52af12, v1 :: v_dual_mul_f32 v187, 0xbf52af12, v67
	s_delay_alu instid0(VALU_DEP_4) | instskip(SKIP_4) | instid1(VALU_DEP_4)
	v_add_f32_e32 v136, v145, v136
	v_sub_f32_e32 v145, v147, v176
	v_fmamk_f32 v217, v2, 0x3df6dbef, v203
	v_dual_mul_f32 v172, 0xbe750f2a, v5 :: v_dual_add_f32 v211, v214, v211
	v_add_f32_e32 v132, v137, v132
	v_add_f32_e32 v136, v145, v136
	s_delay_alu instid0(VALU_DEP_4) | instskip(SKIP_3) | instid1(VALU_DEP_4)
	v_dual_add_f32 v200, v217, v200 :: v_dual_fmamk_f32 v217, v4, 0x3f116cb1, v218
	v_sub_f32_e32 v145, v152, v182
	v_add_f32_e32 v137, v181, v148
	v_dual_mul_f32 v179, 0x3f62ad3f, v8 :: v_dual_mul_f32 v216, 0x3f62ad3f, v119
	v_dual_add_f32 v200, v217, v200 :: v_dual_fmamk_f32 v217, v8, 0xbf788fa5, v220
	s_delay_alu instid0(VALU_DEP_4) | instskip(SKIP_2) | instid1(VALU_DEP_4)
	v_add_f32_e32 v136, v145, v136
	v_dual_mul_f32 v171, 0xbf788fa5, v4 :: v_dual_mul_f32 v188, 0xbf788fa5, v66
	v_mul_f32_e32 v219, 0xbeb58ec6, v128
	v_add_f32_e32 v170, v217, v200
	v_fmamk_f32 v200, v66, 0x3f62ad3f, v221
	v_dual_add_f32 v136, v143, v136 :: v_dual_sub_f32 v143, v156, v199
	v_dual_add_f32 v132, v137, v132 :: v_dual_add_f32 v137, v188, v153
	v_dual_add_f32 v117, v163, v117 :: v_dual_sub_f32 v106, v106, v162
	s_delay_alu instid0(VALU_DEP_3) | instskip(SKIP_2) | instid1(VALU_DEP_4)
	v_add_f32_e32 v133, v143, v136
	v_sub_f32_e32 v136, v144, v180
	v_mul_f32_e32 v215, 0xbf788fa5, v112
	v_add_f32_e32 v117, v60, v117
	v_dual_mul_f32 v161, 0x3f116cb1, v0 :: v_dual_mul_f32 v186, 0x3f116cb1, v66
	v_mul_f32_e32 v80, 0x3f62ad3f, v80
	s_delay_alu instid0(VALU_DEP_4) | instskip(SKIP_3) | instid1(VALU_DEP_4)
	v_fmamk_f32 v214, v10, 0xbe750f2a, v215
	v_mul_f32_e32 v174, 0x3f6f5d39, v5
	v_add_f32_e32 v117, v129, v117
	v_add_f32_e32 v110, v165, v110
	v_dual_mul_f32 v112, 0xbeb58ec6, v112 :: v_dual_add_f32 v211, v214, v211
	s_delay_alu instid0(VALU_DEP_4) | instskip(SKIP_4) | instid1(VALU_DEP_4)
	v_sub_f32_e32 v140, v140, v174
	v_fmamk_f32 v214, v67, 0xbeedf032, v216
	v_mul_f32_e32 v192, 0x3eedf032, v77
	v_mul_f32_e32 v70, 0xbeedf032, v70
	v_fmac_f32_e32 v190, 0x3eedf032, v3
	v_dual_add_f32 v126, v140, v126 :: v_dual_add_f32 v211, v214, v211
	v_add_f32_e32 v147, v200, v170
	v_mul_f32_e32 v111, 0x3df6dbef, v111
	s_delay_alu instid0(VALU_DEP_3) | instskip(SKIP_3) | instid1(VALU_DEP_4)
	v_dual_add_f32 v109, v109, v61 :: v_dual_add_f32 v126, v136, v126
	v_sub_f32_e32 v136, v150, v187
	v_fmamk_f32 v214, v77, 0x3f6f5d39, v219
	v_mul_f32_e32 v173, 0xbeb58ec6, v4
	v_dual_fmac_f32 v215, 0x3e750f2a, v10 :: v_dual_add_f32 v76, v76, v109
	v_add_f32_e32 v107, v60, v107
	s_delay_alu instid0(VALU_DEP_4) | instskip(NEXT) | instid1(VALU_DEP_4)
	v_add_f32_e32 v160, v214, v211
	v_dual_add_f32 v129, v173, v131 :: v_dual_add_f32 v126, v136, v126
	v_sub_f32_e32 v131, v151, v195
	v_fmamk_f32 v109, v10, 0x3f6f5d39, v112
	v_mul_f32_e32 v211, 0xbf6f5d39, v118
	s_delay_alu instid0(VALU_DEP_4) | instskip(SKIP_4) | instid1(VALU_DEP_4)
	v_add_f32_e32 v117, v129, v117
	v_add_f32_e32 v129, v179, v138
	v_sub_f32_e32 v120, v120, v166
	v_add_f32_e32 v126, v131, v126
	v_dual_fmamk_f32 v159, v71, 0xbeb58ec6, v211 :: v_dual_add_f32 v132, v137, v132
	v_add_f32_e32 v117, v129, v117
	v_dual_add_f32 v106, v61, v106 :: v_dual_add_f32 v137, v196, v155
	s_delay_alu instid0(VALU_DEP_3) | instskip(SKIP_1) | instid1(VALU_DEP_3)
	v_add_f32_e32 v159, v159, v147
	v_dual_add_f32 v63, v63, v76 :: v_dual_add_f32 v76, v108, v107
	v_add_f32_e32 v106, v120, v106
	v_dual_sub_f32 v120, v127, v172 :: v_dual_add_f32 v127, v186, v142
	v_add_f32_e32 v132, v137, v132
	s_delay_alu instid0(VALU_DEP_4)
	v_add_f32_e32 v63, v73, v63
	v_add_f32_e32 v23, v23, v76
	v_fmamk_f32 v73, v0, 0x3f62ad3f, v70
	v_add_f32_e32 v117, v127, v117
	v_add_f32_e32 v127, v193, v149
	;; [unrolled: 1-line block ×3, first 2 shown]
	v_dual_mul_f32 v76, 0xbf52af12, v78 :: v_dual_add_f32 v63, v74, v63
	v_dual_add_f32 v23, v62, v23 :: v_dual_add_f32 v62, v60, v73
	s_delay_alu instid0(VALU_DEP_2) | instskip(NEXT) | instid1(VALU_DEP_3)
	v_dual_add_f32 v82, v60, v82 :: v_dual_fmamk_f32 v73, v2, 0x3f116cb1, v76
	v_add_f32_e32 v63, v72, v63
	s_delay_alu instid0(VALU_DEP_3) | instskip(NEXT) | instid1(VALU_DEP_3)
	v_dual_add_f32 v22, v22, v23 :: v_dual_mul_f32 v23, 0xbf788fa5, v128
	v_add_f32_e32 v82, v110, v82
	v_add_f32_e32 v110, v171, v125
	;; [unrolled: 1-line block ×3, first 2 shown]
	v_dual_sub_f32 v117, v146, v192 :: v_dual_add_f32 v106, v120, v106
	v_dual_sub_f32 v120, v134, v178 :: v_dual_mul_f32 v127, 0x3f116cb1, v83
	v_add_f32_e32 v63, v75, v63
	v_dual_add_f32 v13, v13, v22 :: v_dual_mul_f32 v22, 0xbf6f5d39, v81
	s_delay_alu instid0(VALU_DEP_3) | instskip(NEXT) | instid1(VALU_DEP_3)
	v_add_f32_e32 v106, v120, v106
	v_dual_sub_f32 v120, v139, v184 :: v_dual_add_f32 v63, v68, v63
	s_delay_alu instid0(VALU_DEP_3) | instskip(SKIP_2) | instid1(VALU_DEP_4)
	v_add_f32_e32 v13, v12, v13
	v_fmac_f32_e32 v212, 0xbf52af12, v5
	v_dual_fmac_f32 v112, 0xbf6f5d39, v10 :: v_dual_fmac_f32 v219, 0xbf6f5d39, v77
	v_add_f32_e32 v106, v120, v106
	v_dual_fmamk_f32 v120, v1, 0x3eedf032, v80 :: v_dual_add_f32 v11, v11, v63
	v_add_f32_e32 v13, v14, v13
	v_mul_f32_e32 v63, 0xbe750f2a, v118
	s_delay_alu instid0(VALU_DEP_4) | instskip(NEXT) | instid1(VALU_DEP_4)
	v_add_f32_e32 v83, v117, v106
	v_dual_add_f32 v106, v61, v120 :: v_dual_fmamk_f32 v117, v3, 0x3f52af12, v127
	v_add_f32_e32 v11, v64, v11
	v_dual_add_f32 v13, v15, v13 :: v_dual_mul_f32 v74, 0xbf7e222b, v79
	s_delay_alu instid0(VALU_DEP_3) | instskip(SKIP_2) | instid1(VALU_DEP_4)
	v_dual_fmac_f32 v185, 0xbe750f2a, v1 :: v_dual_add_f32 v106, v117, v106
	v_dual_fmamk_f32 v117, v5, 0x3f7e222b, v111 :: v_dual_add_f32 v82, v110, v82
	v_dual_add_f32 v110, v177, v130 :: v_dual_fmamk_f32 v15, v71, 0xbf788fa5, v63
	v_add_f32_e32 v13, v69, v13
	s_delay_alu instid0(VALU_DEP_3) | instskip(SKIP_1) | instid1(VALU_DEP_4)
	v_add_f32_e32 v106, v117, v106
	v_fmamk_f32 v72, v4, 0x3df6dbef, v74
	v_add_f32_e32 v82, v110, v82
	v_add_f32_e32 v110, v183, v135
	s_delay_alu instid0(VALU_DEP_4) | instskip(SKIP_2) | instid1(VALU_DEP_4)
	v_dual_fmac_f32 v127, 0xbf52af12, v3 :: v_dual_add_f32 v106, v109, v106
	v_add_f32_e32 v64, v61, v185
	v_add_f32_e32 v62, v73, v62
	;; [unrolled: 1-line block ×5, first 2 shown]
	v_fmamk_f32 v68, v8, 0xbeb58ec6, v22
	v_dual_add_f32 v62, v72, v62 :: v_dual_fmac_f32 v207, 0xbf29c268, v1
	s_delay_alu instid0(VALU_DEP_4) | instskip(SKIP_2) | instid1(VALU_DEP_4)
	v_dual_add_f32 v82, v110, v82 :: v_dual_fmamk_f32 v73, v77, 0x3e750f2a, v23
	v_mul_f32_e32 v110, 0xbf3f9e67, v119
	v_dual_mul_f32 v72, 0xbf29c268, v105 :: v_dual_add_f32 v13, v7, v6
	v_dual_add_f32 v14, v68, v62 :: v_dual_fmac_f32 v209, 0x3f7e222b, v3
	s_delay_alu instid0(VALU_DEP_3) | instskip(NEXT) | instid1(VALU_DEP_3)
	v_fmamk_f32 v107, v67, 0x3f29c268, v110
	v_fmamk_f32 v62, v66, 0xbf3f9e67, v72
	v_fmac_f32_e32 v205, 0x3f7e222b, v77
	v_fmac_f32_e32 v216, 0x3eedf032, v67
	;; [unrolled: 1-line block ×3, first 2 shown]
	v_add_f32_e32 v78, v107, v106
	v_add_f32_e32 v14, v62, v14
	;; [unrolled: 1-line block ×3, first 2 shown]
	v_fma_f32 v65, 0x3df6dbef, v2, -v203
	v_fmac_f32_e32 v198, 0x3f52af12, v10
	v_add_f32_e32 v12, v73, v78
	v_add_f32_e32 v11, v15, v14
	v_fma_f32 v15, 0xbf788fa5, v0, -v197
	v_add_f32_e32 v14, v9, v62
	v_fma_f32 v62, 0x3f62ad3f, v2, -v201
	v_fma_f32 v2, 0x3f116cb1, v2, -v76
	v_fmac_f32_e32 v111, 0xbf7e222b, v5
	v_add_f32_e32 v15, v60, v15
	v_fmac_f32_e32 v23, 0xbe750f2a, v77
	v_fmac_f32_e32 v110, 0xbf29c268, v67
	s_delay_alu instid0(VALU_DEP_3) | instskip(SKIP_3) | instid1(VALU_DEP_3)
	v_add_f32_e32 v7, v62, v15
	v_add_f32_e32 v15, v61, v207
	;; [unrolled: 1-line block ×3, first 2 shown]
	v_fma_f32 v62, 0xbeb58ec6, v66, -v208
	v_add_f32_e32 v15, v209, v15
	s_delay_alu instid0(VALU_DEP_1) | instskip(SKIP_1) | instid1(VALU_DEP_1)
	v_add_f32_e32 v15, v212, v15
	v_dual_add_f32 v9, v190, v64 :: v_dual_fmac_f32 v194, 0xbf29c268, v5
	v_dual_add_f32 v15, v215, v15 :: v_dual_add_f32 v6, v194, v9
	v_fma_f32 v9, 0xbf3f9e67, v4, -v204
	s_delay_alu instid0(VALU_DEP_2) | instskip(SKIP_1) | instid1(VALU_DEP_4)
	v_add_f32_e32 v1, v216, v15
	v_fma_f32 v15, 0x3f116cb1, v4, -v218
	v_add_f32_e32 v6, v198, v6
	v_fmac_f32_e32 v202, 0xbf6f5d39, v67
	v_add_f32_e32 v7, v9, v7
	v_fma_f32 v9, 0x3f116cb1, v8, -v206
	s_delay_alu instid0(VALU_DEP_3) | instskip(NEXT) | instid1(VALU_DEP_2)
	v_dual_add_f32 v1, v219, v1 :: v_dual_add_f32 v6, v202, v6
	v_add_f32_e32 v9, v9, v7
	s_delay_alu instid0(VALU_DEP_2) | instskip(SKIP_1) | instid1(VALU_DEP_3)
	v_add_f32_e32 v7, v205, v6
	v_fma_f32 v6, 0xbf3f9e67, v0, -v213
	v_add_f32_e32 v9, v62, v9
	v_fma_f32 v62, 0x3df6dbef, v71, -v210
	v_fma_f32 v0, 0x3f62ad3f, v0, -v70
	s_delay_alu instid0(VALU_DEP_4) | instskip(NEXT) | instid1(VALU_DEP_1)
	v_add_f32_e32 v64, v60, v6
	v_dual_add_f32 v6, v62, v9 :: v_dual_add_f32 v9, v65, v64
	s_delay_alu instid0(VALU_DEP_1) | instskip(SKIP_2) | instid1(VALU_DEP_2)
	v_add_f32_e32 v3, v15, v9
	v_fma_f32 v9, 0xbf788fa5, v8, -v220
	v_dual_add_f32 v15, v127, v61 :: v_dual_add_f32 v0, v60, v0
	v_add_f32_e32 v3, v9, v3
	s_delay_alu instid0(VALU_DEP_2) | instskip(SKIP_3) | instid1(VALU_DEP_2)
	v_dual_add_f32 v5, v111, v15 :: v_dual_add_f32 v0, v2, v0
	v_fma_f32 v2, 0x3df6dbef, v4, -v74
	v_fma_f32 v4, 0x3f62ad3f, v66, -v221
	v_fma_f32 v9, 0xbf788fa5, v71, -v63
	v_dual_add_f32 v3, v4, v3 :: v_dual_add_f32 v0, v2, v0
	v_fma_f32 v2, 0xbeb58ec6, v8, -v22
	v_add_f32_e32 v4, v112, v5
	v_mul_u32_u24_e32 v8, 39, v116
	v_fma_f32 v5, 0xbeb58ec6, v71, -v211
	s_delay_alu instid0(VALU_DEP_4) | instskip(SKIP_3) | instid1(VALU_DEP_3)
	v_add_f32_e32 v0, v2, v0
	v_fma_f32 v2, 0xbf3f9e67, v66, -v72
	v_add_f32_e32 v4, v110, v4
	v_add_lshl_u32 v8, v8, v115, 3
	v_add_f32_e32 v2, v2, v0
	s_delay_alu instid0(VALU_DEP_3) | instskip(NEXT) | instid1(VALU_DEP_2)
	v_dual_add_f32 v0, v5, v3 :: v_dual_add_f32 v3, v23, v4
	v_add_f32_e32 v2, v9, v2
	ds_store_2addr_b64 v8, v[13:14], v[11:12] offset1:3
	ds_store_2addr_b64 v8, v[82:83], v[125:126] offset0:6 offset1:9
	ds_store_2addr_b64 v8, v[132:133], v[159:160] offset0:12 offset1:15
	;; [unrolled: 1-line block ×5, first 2 shown]
	ds_store_b64 v8, v[2:3] offset:288
.LBB0_25:
	s_wait_alu 0xfffe
	s_or_b32 exec_lo, exec_lo, s1
	v_add_nc_u32_e32 v0, 0x600, v113
	v_add_nc_u32_e32 v8, 0x1800, v113
	;; [unrolled: 1-line block ×3, first 2 shown]
	global_wb scope:SCOPE_SE
	s_wait_dscnt 0x0
	s_barrier_signal -1
	s_barrier_wait -1
	global_inv scope:SCOPE_SE
	ds_load_2addr_b64 v[4:7], v113 offset1:117
	ds_load_2addr_b64 v[0:3], v0 offset0:42 offset1:237
	ds_load_2addr_b64 v[12:15], v8 offset0:90 offset1:207
	;; [unrolled: 1-line block ×3, first 2 shown]
	ds_load_b64 v[22:23], v113 offset:8736
	s_and_saveexec_b32 s0, vcc_lo
	s_cbranch_execz .LBB0_27
; %bb.26:
	ds_load_b64 v[16:17], v113 offset:2808
	ds_load_b64 v[20:21], v113 offset:6240
	;; [unrolled: 1-line block ×3, first 2 shown]
.LBB0_27:
	s_wait_alu 0xfffe
	s_or_b32 exec_lo, exec_lo, s0
	s_wait_dscnt 0x2
	v_dual_mul_f32 v60, v49, v3 :: v_dual_mul_f32 v61, v51, v13
	v_mul_f32_e32 v49, v49, v2
	v_mul_f32_e32 v51, v51, v12
	global_wb scope:SCOPE_SE
	s_wait_dscnt 0x0
	v_fmac_f32_e32 v60, v48, v2
	v_mul_f32_e32 v2, v45, v8
	v_fma_f32 v3, v48, v3, -v49
	v_dual_mul_f32 v48, v45, v9 :: v_dual_fmac_f32 v61, v50, v12
	v_fma_f32 v12, v50, v13, -v51
	v_mul_f32_e32 v13, v47, v15
	s_delay_alu instid0(VALU_DEP_3)
	v_dual_mul_f32 v45, v33, v11 :: v_dual_fmac_f32 v48, v44, v8
	v_mul_f32_e32 v8, v47, v14
	v_fma_f32 v44, v44, v9, -v2
	v_mul_f32_e32 v2, v33, v10
	v_fmac_f32_e32 v13, v46, v14
	v_fmac_f32_e32 v45, v32, v10
	v_fma_f32 v14, v46, v15, -v8
	v_mul_f32_e32 v15, v35, v23
	v_dual_mul_f32 v8, v35, v22 :: v_dual_add_f32 v9, v4, v60
	v_fma_f32 v32, v32, v11, -v2
	s_delay_alu instid0(VALU_DEP_3) | instskip(SKIP_1) | instid1(VALU_DEP_4)
	v_dual_add_f32 v2, v60, v61 :: v_dual_fmac_f32 v15, v34, v22
	v_sub_f32_e32 v10, v3, v12
	v_fma_f32 v23, v34, v23, -v8
	v_add_f32_e32 v8, v3, v12
	s_delay_alu instid0(VALU_DEP_4)
	v_fma_f32 v2, -0.5, v2, v4
	v_sub_f32_e32 v11, v60, v61
	v_add_f32_e32 v4, v9, v61
	v_add_f32_e32 v9, v5, v3
	v_fma_f32 v3, -0.5, v8, v5
	v_fmamk_f32 v8, v10, 0xbf5db3d7, v2
	v_fmac_f32_e32 v2, 0x3f5db3d7, v10
	s_delay_alu instid0(VALU_DEP_4) | instskip(NEXT) | instid1(VALU_DEP_4)
	v_dual_add_f32 v10, v48, v13 :: v_dual_add_f32 v5, v9, v12
	v_dual_fmamk_f32 v9, v11, 0x3f5db3d7, v3 :: v_dual_add_f32 v12, v6, v48
	v_fmac_f32_e32 v3, 0xbf5db3d7, v11
	s_delay_alu instid0(VALU_DEP_3) | instskip(SKIP_4) | instid1(VALU_DEP_4)
	v_fma_f32 v6, -0.5, v10, v6
	v_dual_sub_f32 v22, v44, v14 :: v_dual_add_f32 v33, v7, v44
	v_add_f32_e32 v11, v44, v14
	v_add_f32_e32 v10, v12, v13
	v_sub_f32_e32 v34, v48, v13
	v_fmamk_f32 v12, v22, 0xbf5db3d7, v6
	s_barrier_signal -1
	v_fmac_f32_e32 v7, -0.5, v11
	v_add_f32_e32 v11, v33, v14
	v_add_f32_e32 v14, v45, v15
	v_dual_fmac_f32 v6, 0x3f5db3d7, v22 :: v_dual_add_f32 v33, v0, v45
	s_delay_alu instid0(VALU_DEP_4) | instskip(SKIP_1) | instid1(VALU_DEP_4)
	v_fmamk_f32 v13, v34, 0x3f5db3d7, v7
	v_fmac_f32_e32 v7, 0xbf5db3d7, v34
	v_fma_f32 v0, -0.5, v14, v0
	v_sub_f32_e32 v35, v45, v15
	v_add_f32_e32 v22, v32, v23
	v_sub_f32_e32 v34, v32, v23
	v_add_f32_e32 v32, v1, v32
	v_add_f32_e32 v14, v33, v15
	s_barrier_wait -1
	s_delay_alu instid0(VALU_DEP_3) | instskip(NEXT) | instid1(VALU_DEP_3)
	v_dual_fmac_f32 v1, -0.5, v22 :: v_dual_fmamk_f32 v22, v34, 0xbf5db3d7, v0
	v_dual_fmac_f32 v0, 0x3f5db3d7, v34 :: v_dual_add_f32 v15, v32, v23
	global_inv scope:SCOPE_SE
	v_fmamk_f32 v23, v35, 0x3f5db3d7, v1
	v_fmac_f32_e32 v1, 0xbf5db3d7, v35
	ds_store_2addr_b64 v124, v[4:5], v[8:9] offset1:39
	ds_store_b64 v124, v[2:3] offset:624
	ds_store_2addr_b64 v123, v[10:11], v[12:13] offset1:39
	ds_store_b64 v123, v[6:7] offset:624
	ds_store_2addr_b64 v122, v[14:15], v[22:23] offset1:39
	ds_store_b64 v122, v[0:1] offset:624
	s_and_saveexec_b32 s0, vcc_lo
	s_cbranch_execz .LBB0_29
; %bb.28:
	v_dual_mul_f32 v0, v25, v20 :: v_dual_mul_f32 v1, v27, v18
	v_dual_mul_f32 v6, v27, v19 :: v_dual_and_b32 v7, 0xffff, v121
	s_delay_alu instid0(VALU_DEP_2) | instskip(NEXT) | instid1(VALU_DEP_3)
	v_fma_f32 v0, v24, v21, -v0
	v_fma_f32 v3, v26, v19, -v1
	v_mul_f32_e32 v2, v25, v21
	s_delay_alu instid0(VALU_DEP_3) | instskip(NEXT) | instid1(VALU_DEP_3)
	v_dual_fmac_f32 v6, v26, v18 :: v_dual_add_f32 v5, v17, v0
	v_add_f32_e32 v1, v0, v3
	s_delay_alu instid0(VALU_DEP_3) | instskip(SKIP_1) | instid1(VALU_DEP_4)
	v_fmac_f32_e32 v2, v24, v20
	v_sub_f32_e32 v9, v0, v3
	v_add_f32_e32 v3, v5, v3
	s_delay_alu instid0(VALU_DEP_4) | instskip(NEXT) | instid1(VALU_DEP_4)
	v_fma_f32 v1, -0.5, v1, v17
	v_sub_f32_e32 v8, v2, v6
	v_add_f32_e32 v4, v2, v6
	v_add_f32_e32 v2, v16, v2
	s_delay_alu instid0(VALU_DEP_3) | instskip(SKIP_1) | instid1(VALU_DEP_4)
	v_fmamk_f32 v5, v8, 0xbf5db3d7, v1
	v_fmac_f32_e32 v1, 0x3f5db3d7, v8
	v_fma_f32 v0, -0.5, v4, v16
	s_delay_alu instid0(VALU_DEP_4) | instskip(SKIP_1) | instid1(VALU_DEP_3)
	v_add_f32_e32 v2, v2, v6
	v_lshlrev_b32_e32 v6, 3, v7
	v_fmamk_f32 v4, v9, 0x3f5db3d7, v0
	v_fmac_f32_e32 v0, 0xbf5db3d7, v9
	ds_store_2addr_b64 v6, v[2:3], v[0:1] offset1:39
	ds_store_b64 v6, v[4:5] offset:624
.LBB0_29:
	s_wait_alu 0xfffe
	s_or_b32 exec_lo, exec_lo, s0
	global_wb scope:SCOPE_SE
	s_wait_dscnt 0x0
	s_barrier_signal -1
	s_barrier_wait -1
	global_inv scope:SCOPE_SE
	ds_load_2addr_b64 v[4:7], v113 offset1:117
	v_add_nc_u32_e32 v3, 0x400, v113
	v_add_nc_u32_e32 v2, 0x1400, v113
	s_mov_b32 s2, 0x768d3a48
	s_mov_b32 s3, 0x3f4975f4
	s_wait_dscnt 0x0
	v_mul_f32_e32 v27, v57, v6
	v_dual_mul_f32 v26, v57, v7 :: v_dual_add_nc_u32 v1, 0xc00, v113
	s_delay_alu instid0(VALU_DEP_1)
	v_fmac_f32_e32 v26, v56, v6
	ds_load_2addr_b64 v[8:11], v3 offset0:106 offset1:223
	ds_load_2addr_b64 v[12:15], v1 offset0:84 offset1:201
	v_add_nc_u32_e32 v0, 0x1c00, v113
	v_fma_f32 v6, v56, v7, -v27
	s_wait_dscnt 0x1
	v_mul_f32_e32 v7, v59, v8
	ds_load_2addr_b64 v[16:19], v2 offset0:62 offset1:179
	ds_load_b64 v[24:25], v113 offset:9360
	ds_load_2addr_b64 v[20:23], v0 offset0:40 offset1:157
	v_dual_mul_f32 v27, v59, v9 :: v_dual_mul_f32 v32, v53, v11
	s_wait_dscnt 0x3
	v_dual_mul_f32 v33, v53, v10 :: v_dual_mul_f32 v34, v55, v13
	v_dual_mul_f32 v35, v55, v12 :: v_dual_mul_f32 v44, v37, v15
	s_delay_alu instid0(VALU_DEP_3) | instskip(SKIP_1) | instid1(VALU_DEP_4)
	v_dual_fmac_f32 v27, v58, v8 :: v_dual_fmac_f32 v32, v52, v10
	v_fma_f32 v8, v58, v9, -v7
	v_dual_fmac_f32 v34, v54, v12 :: v_dual_mul_f32 v7, v37, v14
	s_delay_alu instid0(VALU_DEP_4)
	v_fma_f32 v10, v54, v13, -v35
	v_fmac_f32_e32 v44, v36, v14
	v_add_f32_e32 v12, v4, v26
	v_fma_f32 v9, v52, v11, -v33
	v_fma_f32 v14, v36, v15, -v7
	s_wait_dscnt 0x2
	v_mul_f32_e32 v7, v39, v16
	v_dual_add_f32 v13, v5, v6 :: v_dual_add_f32 v12, v12, v27
	v_mul_f32_e32 v11, v39, v17
	v_mul_f32_e32 v15, v29, v19
	s_delay_alu instid0(VALU_DEP_3) | instskip(NEXT) | instid1(VALU_DEP_4)
	v_add_f32_e32 v13, v13, v8
	v_add_f32_e32 v12, v12, v32
	s_delay_alu instid0(VALU_DEP_3) | instskip(NEXT) | instid1(VALU_DEP_3)
	v_fmac_f32_e32 v15, v28, v18
	v_add_f32_e32 v13, v13, v9
	v_fmac_f32_e32 v11, v38, v16
	v_fma_f32 v16, v38, v17, -v7
	v_mul_f32_e32 v7, v29, v18
	s_wait_dscnt 0x0
	v_mul_f32_e32 v17, v31, v21
	s_delay_alu instid0(VALU_DEP_2) | instskip(SKIP_2) | instid1(VALU_DEP_1)
	v_fma_f32 v18, v28, v19, -v7
	v_add_f32_e32 v7, v12, v34
	v_add_f32_e32 v12, v13, v10
	;; [unrolled: 1-line block ×3, first 2 shown]
	s_delay_alu instid0(VALU_DEP_1) | instskip(NEXT) | instid1(VALU_DEP_1)
	v_add_f32_e32 v12, v12, v16
	v_dual_mul_f32 v13, v31, v20 :: v_dual_add_f32 v12, v12, v18
	s_delay_alu instid0(VALU_DEP_1) | instskip(SKIP_1) | instid1(VALU_DEP_1)
	v_fma_f32 v13, v30, v21, -v13
	v_mul_f32_e32 v21, v43, v25
	v_dual_add_f32 v12, v12, v13 :: v_dual_fmac_f32 v21, v42, v24
	v_mul_f32_e32 v19, v41, v23
	s_delay_alu instid0(VALU_DEP_1) | instskip(SKIP_2) | instid1(VALU_DEP_2)
	v_fmac_f32_e32 v19, v40, v22
	v_dual_mul_f32 v22, v41, v22 :: v_dual_fmac_f32 v17, v30, v20
	v_mul_f32_e32 v20, v43, v24
	v_fma_f32 v22, v40, v23, -v22
	s_delay_alu instid0(VALU_DEP_2) | instskip(NEXT) | instid1(VALU_DEP_2)
	v_fma_f32 v20, v42, v25, -v20
	v_sub_f32_e32 v46, v8, v22
	v_add_f32_e32 v8, v8, v22
	s_delay_alu instid0(VALU_DEP_3) | instskip(SKIP_2) | instid1(VALU_DEP_2)
	v_add_f32_e32 v28, v6, v20
	v_add_f32_e32 v7, v7, v44
	v_sub_f32_e32 v24, v6, v20
	v_dual_mul_f32 v30, 0x3ed4b147, v28 :: v_dual_add_f32 v7, v7, v11
	v_mul_f32_e32 v37, 0xbe11bafb, v28
	v_mul_f32_e32 v41, 0xbf27a4f4, v28
	s_delay_alu instid0(VALU_DEP_4) | instskip(SKIP_2) | instid1(VALU_DEP_1)
	v_mul_f32_e32 v38, 0xbf4178ce, v24
	v_mul_f32_e32 v35, 0xbf7d64f0, v24
	v_add_f32_e32 v7, v7, v15
	v_add_f32_e32 v7, v7, v17
	s_delay_alu instid0(VALU_DEP_1) | instskip(SKIP_2) | instid1(VALU_DEP_2)
	v_dual_add_f32 v6, v7, v19 :: v_dual_add_f32 v7, v12, v22
	v_sub_f32_e32 v12, v26, v21
	v_mul_f32_e32 v22, 0xbf68dda4, v46
	v_dual_add_f32 v6, v6, v21 :: v_dual_fmamk_f32 v33, v12, 0x3f68dda4, v30
	v_dual_fmac_f32 v30, 0xbf68dda4, v12 :: v_dual_add_f32 v23, v26, v21
	v_fmamk_f32 v42, v12, 0x3f4178ce, v41
	v_mul_f32_e32 v25, 0xbf0a6770, v24
	s_delay_alu instid0(VALU_DEP_3) | instskip(SKIP_1) | instid1(VALU_DEP_4)
	v_dual_fmac_f32 v41, 0xbf4178ce, v12 :: v_dual_add_f32 v30, v5, v30
	v_fmamk_f32 v39, v12, 0x3f7d64f0, v37
	v_dual_fmac_f32 v37, 0xbf7d64f0, v12 :: v_dual_add_f32 v42, v5, v42
	s_delay_alu instid0(VALU_DEP_4) | instskip(SKIP_1) | instid1(VALU_DEP_4)
	v_fmamk_f32 v26, v23, 0x3f575c64, v25
	v_fma_f32 v25, 0x3f575c64, v23, -v25
	v_dual_fmamk_f32 v40, v23, 0xbf27a4f4, v38 :: v_dual_add_f32 v39, v5, v39
	s_delay_alu instid0(VALU_DEP_4) | instskip(SKIP_1) | instid1(VALU_DEP_4)
	v_add_f32_e32 v37, v5, v37
	v_fma_f32 v38, 0xbf27a4f4, v23, -v38
	v_add_f32_e32 v25, v4, v25
	v_mul_f32_e32 v29, 0x3f575c64, v28
	v_dual_add_f32 v7, v7, v20 :: v_dual_add_f32 v20, v4, v26
	v_mul_f32_e32 v26, 0xbf68dda4, v24
	v_mul_f32_e32 v28, 0xbf75a155, v28
	v_add_f32_e32 v38, v4, v38
	v_fmamk_f32 v21, v12, 0x3f0a6770, v29
	v_fmac_f32_e32 v29, 0xbf0a6770, v12
	v_fmamk_f32 v36, v23, 0xbe11bafb, v35
	v_fmamk_f32 v31, v23, 0x3ed4b147, v26
	;; [unrolled: 1-line block ×3, first 2 shown]
	v_dual_add_f32 v41, v5, v41 :: v_dual_fmac_f32 v28, 0xbe903f40, v12
	v_dual_sub_f32 v12, v27, v19 :: v_dual_add_f32 v21, v5, v21
	v_add_f32_e32 v36, v4, v36
	v_dual_add_f32 v31, v4, v31 :: v_dual_mul_f32 v24, 0xbe903f40, v24
	v_fma_f32 v35, 0xbe11bafb, v23, -v35
	v_dual_add_f32 v29, v5, v29 :: v_dual_add_f32 v40, v4, v40
	v_fma_f32 v26, 0x3ed4b147, v23, -v26
	s_delay_alu instid0(VALU_DEP_4) | instskip(NEXT) | instid1(VALU_DEP_4)
	v_fmamk_f32 v43, v23, 0xbf75a155, v24
	v_add_f32_e32 v35, v4, v35
	v_add_f32_e32 v47, v27, v19
	v_fma_f32 v23, 0xbf75a155, v23, -v24
	v_dual_mul_f32 v19, 0x3ed4b147, v8 :: v_dual_add_f32 v26, v4, v26
	s_delay_alu instid0(VALU_DEP_3) | instskip(NEXT) | instid1(VALU_DEP_3)
	v_dual_add_f32 v43, v4, v43 :: v_dual_fmamk_f32 v24, v47, 0x3ed4b147, v22
	v_add_f32_e32 v4, v4, v23
	s_delay_alu instid0(VALU_DEP_3) | instskip(SKIP_1) | instid1(VALU_DEP_2)
	v_fmamk_f32 v27, v12, 0x3f68dda4, v19
	v_fma_f32 v22, 0x3ed4b147, v47, -v22
	v_dual_add_f32 v20, v24, v20 :: v_dual_add_f32 v21, v27, v21
	s_delay_alu instid0(VALU_DEP_2)
	v_dual_add_f32 v22, v22, v25 :: v_dual_mul_f32 v27, 0xbf27a4f4, v8
	v_add_f32_e32 v33, v5, v33
	v_add_f32_e32 v45, v5, v45
	;; [unrolled: 1-line block ×3, first 2 shown]
	v_mul_f32_e32 v25, 0x3e903f40, v46
	v_fmamk_f32 v28, v12, 0x3f4178ce, v27
	v_mul_f32_e32 v23, 0xbf4178ce, v46
	v_fmac_f32_e32 v27, 0xbf4178ce, v12
	s_delay_alu instid0(VALU_DEP_3) | instskip(NEXT) | instid1(VALU_DEP_3)
	v_dual_fmac_f32 v19, 0xbf68dda4, v12 :: v_dual_add_f32 v28, v28, v33
	v_fmamk_f32 v24, v47, 0xbf27a4f4, v23
	v_fma_f32 v23, 0xbf27a4f4, v47, -v23
	s_delay_alu instid0(VALU_DEP_3) | instskip(NEXT) | instid1(VALU_DEP_3)
	v_add_f32_e32 v19, v19, v29
	v_dual_mul_f32 v33, 0xbe11bafb, v8 :: v_dual_add_f32 v24, v24, v31
	v_fmamk_f32 v31, v47, 0xbf75a155, v25
	s_delay_alu instid0(VALU_DEP_4) | instskip(SKIP_1) | instid1(VALU_DEP_3)
	v_add_f32_e32 v23, v23, v26
	v_add_f32_e32 v26, v27, v30
	v_dual_add_f32 v30, v31, v36 :: v_dual_mul_f32 v31, 0x3f7d64f0, v46
	v_mul_f32_e32 v29, 0xbf75a155, v8
	v_mul_f32_e32 v8, 0x3f575c64, v8
	s_delay_alu instid0(VALU_DEP_3) | instskip(NEXT) | instid1(VALU_DEP_1)
	v_fmamk_f32 v36, v47, 0xbe11bafb, v31
	v_add_f32_e32 v36, v36, v40
	v_fma_f32 v25, 0xbf75a155, v47, -v25
	v_fmamk_f32 v27, v12, 0xbe903f40, v29
	v_fma_f32 v31, 0xbe11bafb, v47, -v31
	v_fmamk_f32 v40, v12, 0xbf0a6770, v8
	s_delay_alu instid0(VALU_DEP_4) | instskip(SKIP_3) | instid1(VALU_DEP_3)
	v_dual_fmac_f32 v8, 0x3f0a6770, v12 :: v_dual_add_f32 v25, v25, v35
	v_mul_f32_e32 v35, 0x3f0a6770, v46
	v_add_f32_e32 v27, v27, v39
	v_add_f32_e32 v31, v31, v38
	v_fmamk_f32 v39, v47, 0x3f575c64, v35
	v_fma_f32 v35, 0x3f575c64, v47, -v35
	s_delay_alu instid0(VALU_DEP_2) | instskip(NEXT) | instid1(VALU_DEP_1)
	v_dual_add_f32 v38, v39, v43 :: v_dual_fmac_f32 v29, 0x3e903f40, v12
	v_dual_add_f32 v4, v35, v4 :: v_dual_add_f32 v29, v29, v37
	v_fmamk_f32 v37, v12, 0xbf7d64f0, v33
	v_dual_fmac_f32 v33, 0x3f7d64f0, v12 :: v_dual_sub_f32 v12, v32, v17
	v_sub_f32_e32 v39, v9, v13
	v_add_f32_e32 v9, v9, v13
	s_delay_alu instid0(VALU_DEP_4)
	v_add_f32_e32 v37, v37, v42
	v_add_f32_e32 v13, v32, v17
	;; [unrolled: 1-line block ×4, first 2 shown]
	v_mul_f32_e32 v17, 0xbe11bafb, v9
	v_mul_f32_e32 v42, 0x3ed4b147, v9
	v_add_f32_e32 v33, v33, v41
	v_mul_f32_e32 v41, 0xbf7d64f0, v39
	s_delay_alu instid0(VALU_DEP_4) | instskip(NEXT) | instid1(VALU_DEP_2)
	v_fmamk_f32 v8, v12, 0x3f7d64f0, v17
	v_fmamk_f32 v40, v13, 0xbe11bafb, v41
	s_delay_alu instid0(VALU_DEP_2) | instskip(NEXT) | instid1(VALU_DEP_2)
	v_dual_add_f32 v8, v8, v21 :: v_dual_mul_f32 v35, 0x3e903f40, v39
	v_add_f32_e32 v20, v40, v20
	v_fma_f32 v40, 0xbe11bafb, v13, -v41
	s_delay_alu instid0(VALU_DEP_3) | instskip(SKIP_1) | instid1(VALU_DEP_3)
	v_fmamk_f32 v21, v13, 0xbf75a155, v35
	v_fma_f32 v35, 0xbf75a155, v13, -v35
	v_dual_add_f32 v22, v40, v22 :: v_dual_fmac_f32 v17, 0xbf7d64f0, v12
	s_delay_alu instid0(VALU_DEP_3) | instskip(NEXT) | instid1(VALU_DEP_3)
	v_add_f32_e32 v21, v21, v24
	v_add_f32_e32 v23, v35, v23
	v_mul_f32_e32 v41, 0xbf75a155, v9
	s_delay_alu instid0(VALU_DEP_4) | instskip(SKIP_1) | instid1(VALU_DEP_3)
	v_add_f32_e32 v17, v17, v19
	v_mul_f32_e32 v19, 0x3f68dda4, v39
	v_fmamk_f32 v24, v12, 0xbe903f40, v41
	s_delay_alu instid0(VALU_DEP_2) | instskip(SKIP_1) | instid1(VALU_DEP_3)
	v_fmamk_f32 v40, v13, 0x3ed4b147, v19
	v_fma_f32 v19, 0x3ed4b147, v13, -v19
	v_add_f32_e32 v24, v24, v28
	s_delay_alu instid0(VALU_DEP_3) | instskip(SKIP_4) | instid1(VALU_DEP_4)
	v_add_f32_e32 v28, v40, v30
	v_fmamk_f32 v30, v12, 0xbf68dda4, v42
	v_fmac_f32_e32 v42, 0x3f68dda4, v12
	v_mul_f32_e32 v40, 0x3f575c64, v9
	v_add_f32_e32 v19, v19, v25
	v_add_f32_e32 v27, v30, v27
	s_delay_alu instid0(VALU_DEP_4) | instskip(NEXT) | instid1(VALU_DEP_4)
	v_add_f32_e32 v25, v42, v29
	v_fmamk_f32 v29, v12, 0x3f0a6770, v40
	v_dual_fmac_f32 v40, 0xbf0a6770, v12 :: v_dual_mul_f32 v35, 0xbf0a6770, v39
	v_fmac_f32_e32 v41, 0x3e903f40, v12
	s_delay_alu instid0(VALU_DEP_2) | instskip(SKIP_1) | instid1(VALU_DEP_3)
	v_fmamk_f32 v30, v13, 0x3f575c64, v35
	v_fma_f32 v35, 0x3f575c64, v13, -v35
	v_add_f32_e32 v26, v41, v26
	s_delay_alu instid0(VALU_DEP_2) | instskip(SKIP_2) | instid1(VALU_DEP_2)
	v_dual_add_f32 v30, v30, v36 :: v_dual_add_f32 v31, v35, v31
	v_sub_f32_e32 v35, v10, v18
	v_dual_add_f32 v10, v10, v18 :: v_dual_add_f32 v29, v29, v37
	v_mul_f32_e32 v18, 0xbf4178ce, v35
	v_mul_f32_e32 v9, 0xbf27a4f4, v9
	s_delay_alu instid0(VALU_DEP_1) | instskip(SKIP_1) | instid1(VALU_DEP_2)
	v_fmamk_f32 v37, v12, 0x3f4178ce, v9
	v_dual_fmac_f32 v9, 0xbf4178ce, v12 :: v_dual_sub_f32 v12, v34, v15
	v_dual_add_f32 v32, v37, v32 :: v_dual_mul_f32 v39, 0xbf4178ce, v39
	s_delay_alu instid0(VALU_DEP_2) | instskip(NEXT) | instid1(VALU_DEP_2)
	v_add_f32_e32 v5, v9, v5
	v_fmamk_f32 v36, v13, 0xbf27a4f4, v39
	s_delay_alu instid0(VALU_DEP_1) | instskip(SKIP_1) | instid1(VALU_DEP_1)
	v_add_f32_e32 v36, v36, v38
	v_add_f32_e32 v38, v34, v15
	v_fmamk_f32 v34, v38, 0xbf27a4f4, v18
	v_fma_f32 v13, 0xbf27a4f4, v13, -v39
	v_fma_f32 v18, 0xbf27a4f4, v38, -v18
	s_delay_alu instid0(VALU_DEP_2) | instskip(NEXT) | instid1(VALU_DEP_4)
	v_dual_add_f32 v4, v13, v4 :: v_dual_mul_f32 v15, 0xbf27a4f4, v10
	v_dual_add_f32 v13, v34, v20 :: v_dual_mul_f32 v20, 0x3f7d64f0, v35
	s_delay_alu instid0(VALU_DEP_2) | instskip(SKIP_1) | instid1(VALU_DEP_3)
	v_dual_add_f32 v18, v18, v22 :: v_dual_fmamk_f32 v9, v12, 0x3f4178ce, v15
	v_fmac_f32_e32 v15, 0xbf4178ce, v12
	v_fmamk_f32 v34, v38, 0xbe11bafb, v20
	v_fma_f32 v20, 0xbe11bafb, v38, -v20
	s_delay_alu instid0(VALU_DEP_3) | instskip(SKIP_1) | instid1(VALU_DEP_3)
	v_dual_add_f32 v8, v9, v8 :: v_dual_add_f32 v15, v15, v17
	v_mul_f32_e32 v17, 0xbf0a6770, v35
	v_dual_add_f32 v20, v20, v23 :: v_dual_mul_f32 v9, 0xbe11bafb, v10
	s_delay_alu instid0(VALU_DEP_1) | instskip(NEXT) | instid1(VALU_DEP_3)
	v_dual_fmamk_f32 v22, v12, 0xbf7d64f0, v9 :: v_dual_add_f32 v21, v34, v21
	v_fmamk_f32 v34, v38, 0x3f575c64, v17
	v_fma_f32 v17, 0x3f575c64, v38, -v17
	s_delay_alu instid0(VALU_DEP_3) | instskip(NEXT) | instid1(VALU_DEP_2)
	v_add_f32_e32 v22, v22, v24
	v_dual_mul_f32 v24, 0x3f575c64, v10 :: v_dual_add_f32 v17, v17, v19
	v_fmac_f32_e32 v9, 0x3f7d64f0, v12
	s_delay_alu instid0(VALU_DEP_1) | instskip(SKIP_4) | instid1(VALU_DEP_4)
	v_dual_add_f32 v23, v9, v26 :: v_dual_add_f32 v26, v34, v28
	v_mul_f32_e32 v9, 0xbe903f40, v35
	v_dual_mul_f32 v34, 0xbf75a155, v10 :: v_dual_add_f32 v33, v40, v33
	v_fmamk_f32 v28, v12, 0x3f0a6770, v24
	v_fmac_f32_e32 v24, 0xbf0a6770, v12
	v_fmamk_f32 v37, v38, 0xbf75a155, v9
	s_delay_alu instid0(VALU_DEP_4) | instskip(SKIP_3) | instid1(VALU_DEP_2)
	v_fmamk_f32 v19, v12, 0x3e903f40, v34
	v_mul_f32_e32 v10, 0x3ed4b147, v10
	v_fmac_f32_e32 v34, 0xbe903f40, v12
	v_fma_f32 v9, 0xbf75a155, v38, -v9
	v_add_f32_e32 v33, v34, v33
	v_dual_add_f32 v34, v14, v16 :: v_dual_add_f32 v27, v28, v27
	v_add_f32_e32 v28, v24, v25
	v_add_f32_e32 v24, v37, v30
	v_fmamk_f32 v30, v12, 0xbf68dda4, v10
	v_mul_f32_e32 v25, 0x3f68dda4, v35
	v_sub_f32_e32 v35, v14, v16
	v_dual_add_f32 v19, v19, v29 :: v_dual_fmac_f32 v10, 0x3f68dda4, v12
	s_delay_alu instid0(VALU_DEP_4) | instskip(NEXT) | instid1(VALU_DEP_4)
	v_add_f32_e32 v30, v30, v32
	v_fmamk_f32 v29, v38, 0x3ed4b147, v25
	v_fma_f32 v14, 0x3ed4b147, v38, -v25
	v_dual_sub_f32 v25, v44, v11 :: v_dual_mul_f32 v38, 0xbf27a4f4, v34
	v_add_f32_e32 v31, v9, v31
	v_add_f32_e32 v32, v44, v11
	v_dual_mul_f32 v12, 0xbf75a155, v34 :: v_dual_add_f32 v37, v10, v5
	s_delay_alu instid0(VALU_DEP_4)
	v_fmamk_f32 v16, v25, 0x3f4178ce, v38
	v_mul_f32_e32 v9, 0xbe903f40, v35
	v_add_f32_e32 v29, v29, v36
	v_add_f32_e32 v36, v14, v4
	v_mul_f32_e32 v14, 0x3f0a6770, v35
	v_fmamk_f32 v5, v25, 0x3e903f40, v12
	v_fmamk_f32 v11, v32, 0xbf75a155, v9
	v_fma_f32 v9, 0xbf75a155, v32, -v9
	v_fmac_f32_e32 v12, 0xbe903f40, v25
	s_delay_alu instid0(VALU_DEP_4) | instskip(NEXT) | instid1(VALU_DEP_4)
	v_dual_fmamk_f32 v10, v32, 0x3f575c64, v14 :: v_dual_add_f32 v5, v5, v8
	v_add_f32_e32 v4, v11, v13
	s_delay_alu instid0(VALU_DEP_3)
	v_dual_add_f32 v8, v9, v18 :: v_dual_add_f32 v9, v12, v15
	v_fma_f32 v12, 0x3f575c64, v32, -v14
	v_mul_f32_e32 v14, 0xbf4178ce, v35
	v_mul_f32_e32 v13, 0x3f575c64, v34
	;; [unrolled: 1-line block ×3, first 2 shown]
	v_add_f32_e32 v10, v10, v21
	v_add_f32_e32 v12, v12, v20
	v_fmamk_f32 v15, v32, 0xbf27a4f4, v14
	v_fma_f32 v20, 0xbf27a4f4, v32, -v14
	v_mul_f32_e32 v21, 0x3ed4b147, v34
	s_delay_alu instid0(VALU_DEP_3) | instskip(SKIP_4) | instid1(VALU_DEP_3)
	v_add_f32_e32 v14, v15, v26
	v_mul_f32_e32 v26, 0xbe11bafb, v34
	v_fmamk_f32 v11, v25, 0xbf0a6770, v13
	v_fmac_f32_e32 v13, 0x3f0a6770, v25
	v_dual_add_f32 v15, v16, v27 :: v_dual_fmac_f32 v38, 0xbf4178ce, v25
	v_dual_add_f32 v11, v11, v22 :: v_dual_fmamk_f32 v22, v32, 0x3ed4b147, v18
	v_dual_add_f32 v16, v20, v17 :: v_dual_fmamk_f32 v17, v25, 0xbf68dda4, v21
	v_fma_f32 v20, 0x3ed4b147, v32, -v18
	s_delay_alu instid0(VALU_DEP_3) | instskip(SKIP_1) | instid1(VALU_DEP_4)
	v_dual_add_f32 v13, v13, v23 :: v_dual_add_f32 v18, v22, v24
	v_mul_f32_e32 v22, 0xbf7d64f0, v35
	v_add_f32_e32 v19, v17, v19
	v_fmamk_f32 v23, v25, 0x3f7d64f0, v26
	v_fmac_f32_e32 v21, 0x3f68dda4, v25
	v_fmac_f32_e32 v26, 0xbf7d64f0, v25
	v_fmamk_f32 v17, v32, 0xbe11bafb, v22
	v_fma_f32 v24, 0xbe11bafb, v32, -v22
	v_dual_add_f32 v23, v23, v30 :: v_dual_add_f32 v20, v20, v31
	v_add_f32_e32 v21, v21, v33
	s_delay_alu instid0(VALU_DEP_4) | instskip(NEXT) | instid1(VALU_DEP_4)
	v_add_f32_e32 v22, v17, v29
	v_dual_add_f32 v24, v24, v36 :: v_dual_add_f32 v25, v26, v37
	v_add_f32_e32 v17, v38, v28
	ds_store_2addr_b64 v113, v[6:7], v[4:5] offset1:117
	ds_store_2addr_b64 v3, v[10:11], v[14:15] offset0:106 offset1:223
	ds_store_2addr_b64 v1, v[18:19], v[22:23] offset0:84 offset1:201
	;; [unrolled: 1-line block ×4, first 2 shown]
	ds_store_b64 v113, v[8:9] offset:9360
	v_add_nc_u32_e32 v8, 0x1800, v113
	v_add_nc_u32_e32 v4, 0x600, v113
	global_wb scope:SCOPE_SE
	s_wait_dscnt 0x0
	s_barrier_signal -1
	s_barrier_wait -1
	global_inv scope:SCOPE_SE
	ds_load_2addr_b64 v[0:3], v113 offset1:117
	ds_load_2addr_b64 v[8:11], v8 offset0:90 offset1:207
	ds_load_2addr_b64 v[4:7], v4 offset0:42 offset1:237
	v_add_nc_u32_e32 v13, 0x1000, v113
	v_mad_co_u64_u32 v[38:39], null, s4, v114, 0
	s_wait_dscnt 0x2
	v_mul_f32_e32 v24, v98, v3
	s_wait_dscnt 0x1
	v_mul_f32_e32 v22, v102, v9
	v_mul_f32_e32 v12, v100, v0
	;; [unrolled: 1-line block ×3, first 2 shown]
	s_wait_dscnt 0x0
	v_dual_mul_f32 v20, v104, v7 :: v_dual_mul_f32 v23, v102, v8
	v_dual_mul_f32 v25, v98, v2 :: v_dual_fmac_f32 v22, v101, v8
	v_fmac_f32_e32 v24, v97, v2
	v_fma_f32 v18, v99, v1, -v12
	ds_load_2addr_b64 v[12:15], v13 offset0:34 offset1:151
	v_fmac_f32_e32 v16, v99, v0
	v_fmac_f32_e32 v20, v103, v6
	v_mul_f32_e32 v6, v104, v6
	v_fma_f32 v8, v101, v9, -v23
	v_fma_f32 v26, v97, v3, -v25
	v_cvt_f64_f32_e32 v[2:3], v22
	v_cvt_f64_f32_e32 v[22:23], v24
	ds_load_b64 v[24:25], v113 offset:8736
	v_cvt_f64_f32_e32 v[16:17], v16
	v_cvt_f64_f32_e32 v[18:19], v18
	v_fma_f32 v6, v103, v7, -v6
	v_cvt_f64_f32_e32 v[20:21], v20
	v_mul_f32_e32 v32, v90, v5
	v_cvt_f64_f32_e32 v[8:9], v8
	v_mul_f32_e32 v30, v92, v11
	v_cvt_f64_f32_e32 v[6:7], v6
	s_delay_alu instid0(VALU_DEP_4)
	v_dual_mul_f32 v31, v92, v10 :: v_dual_fmac_f32 v32, v89, v4
	v_mul_f32_e32 v4, v90, v4
	s_wait_dscnt 0x1
	v_mul_f32_e32 v28, v88, v13
	v_dual_mul_f32 v29, v88, v12 :: v_dual_mul_f32 v34, v94, v15
	v_mul_f32_e32 v35, v94, v14
	v_fmac_f32_e32 v30, v91, v10
	s_delay_alu instid0(VALU_DEP_4) | instskip(NEXT) | instid1(VALU_DEP_4)
	v_fmac_f32_e32 v28, v87, v12
	v_fma_f32 v12, v87, v13, -v29
	v_fma_f32 v31, v91, v11, -v31
	s_wait_dscnt 0x0
	v_mul_f32_e32 v36, v96, v25
	v_mul_f32_e32 v37, v96, v24
	v_fma_f32 v4, v89, v5, -v4
	v_fmac_f32_e32 v34, v93, v14
	v_fma_f32 v35, v93, v15, -v35
	v_fmac_f32_e32 v36, v95, v24
	v_fma_f32 v37, v95, v25, -v37
	v_cvt_f64_f32_e32 v[26:27], v26
	v_cvt_f64_f32_e32 v[10:11], v28
	;; [unrolled: 1-line block ×11, first 2 shown]
	v_mad_co_u64_u32 v[0:1], null, s6, v84, 0
	s_wait_alu 0xfffe
	v_mul_f64_e32 v[16:17], s[2:3], v[16:17]
	v_mul_f64_e32 v[18:19], s[2:3], v[18:19]
	v_mul_f64_e32 v[20:21], s[2:3], v[20:21]
	v_mul_f64_e32 v[22:23], s[2:3], v[22:23]
	v_mul_f64_e32 v[8:9], s[2:3], v[8:9]
	v_mad_co_u64_u32 v[40:41], null, s7, v84, v[1:2]
	v_mov_b32_e32 v1, v39
	v_mul_f64_e32 v[6:7], s[2:3], v[6:7]
	s_delay_alu instid0(VALU_DEP_2) | instskip(SKIP_2) | instid1(VALU_DEP_3)
	v_mad_co_u64_u32 v[41:42], null, s5, v114, v[1:2]
	v_mul_f64_e32 v[2:3], s[2:3], v[2:3]
	v_mov_b32_e32 v1, v40
	v_mov_b32_e32 v39, v41
	s_delay_alu instid0(VALU_DEP_2)
	v_lshlrev_b64_e32 v[0:1], 3, v[0:1]
	v_mul_f64_e32 v[26:27], s[2:3], v[26:27]
	v_mul_f64_e32 v[10:11], s[2:3], v[10:11]
	;; [unrolled: 1-line block ×11, first 2 shown]
	v_lshlrev_b64_e32 v[38:39], 3, v[38:39]
	v_add_co_u32 v0, s0, s8, v0
	v_cvt_f32_f64_e32 v16, v[16:17]
	v_cvt_f32_f64_e32 v17, v[18:19]
	;; [unrolled: 1-line block ×3, first 2 shown]
	s_wait_alu 0xf1ff
	v_add_co_ci_u32_e64 v1, s0, s9, v1, s0
	v_add_co_u32 v0, s0, v0, v38
	v_cvt_f32_f64_e32 v19, v[6:7]
	s_wait_alu 0xf1ff
	s_delay_alu instid0(VALU_DEP_3)
	v_add_co_ci_u32_e64 v1, s0, v1, v39, s0
	s_mul_u64 s[0:1], s[4:5], 0x1ad
	s_wait_alu 0xfffe
	s_lshl_b64 s[6:7], s[0:1], 3
	v_cvt_f32_f64_e32 v2, v[2:3]
	v_cvt_f32_f64_e32 v3, v[8:9]
	s_wait_alu 0xfffe
	v_add_co_u32 v6, s0, v0, s6
	s_wait_alu 0xf1ff
	v_add_co_ci_u32_e64 v7, s0, s7, v1, s0
	s_movk_i32 s0, 0xfd1b
	s_mov_b32 s1, -1
	v_cvt_f32_f64_e32 v8, v[22:23]
	s_wait_alu 0xfffe
	s_mul_u64 s[4:5], s[4:5], s[0:1]
	v_cvt_f32_f64_e32 v9, v[26:27]
	v_cvt_f32_f64_e32 v10, v[10:11]
	;; [unrolled: 1-line block ×5, first 2 shown]
	v_add_co_u32 v22, s0, v6, s6
	v_cvt_f32_f64_e32 v20, v[32:33]
	v_cvt_f32_f64_e32 v21, v[4:5]
	;; [unrolled: 1-line block ×4, first 2 shown]
	s_wait_alu 0xf1ff
	v_add_co_ci_u32_e64 v23, s0, s7, v7, s0
	v_cvt_f32_f64_e32 v14, v[34:35]
	v_cvt_f32_f64_e32 v15, v[36:37]
	s_wait_alu 0xfffe
	s_lshl_b64 s[4:5], s[4:5], 3
	global_store_b64 v[0:1], v[16:17], off
	s_wait_alu 0xfffe
	v_add_co_u32 v24, s0, v22, s4
	s_wait_alu 0xf1ff
	v_add_co_ci_u32_e64 v25, s0, s5, v23, s0
	s_delay_alu instid0(VALU_DEP_2) | instskip(SKIP_1) | instid1(VALU_DEP_2)
	v_add_co_u32 v26, s0, v24, s6
	s_wait_alu 0xf1ff
	v_add_co_ci_u32_e64 v27, s0, s7, v25, s0
	global_store_b64 v[6:7], v[18:19], off
	v_add_co_u32 v16, s0, v26, s6
	s_wait_alu 0xf1ff
	v_add_co_ci_u32_e64 v17, s0, s7, v27, s0
	global_store_b64 v[22:23], v[2:3], off
	v_add_co_u32 v6, s0, v16, s4
	s_wait_alu 0xf1ff
	v_add_co_ci_u32_e64 v7, s0, s5, v17, s0
	s_delay_alu instid0(VALU_DEP_2) | instskip(SKIP_1) | instid1(VALU_DEP_2)
	v_add_co_u32 v2, s0, v6, s6
	s_wait_alu 0xf1ff
	v_add_co_ci_u32_e64 v3, s0, s7, v7, s0
	global_store_b64 v[24:25], v[8:9], off
	v_add_co_u32 v0, s0, v2, s6
	s_wait_alu 0xf1ff
	v_add_co_ci_u32_e64 v1, s0, s7, v3, s0
	global_store_b64 v[26:27], v[10:11], off
	global_store_b64 v[16:17], v[12:13], off
	;; [unrolled: 1-line block ×5, first 2 shown]
	s_and_b32 exec_lo, exec_lo, vcc_lo
	s_cbranch_execz .LBB0_31
; %bb.30:
	s_clause 0x2
	global_load_b64 v[2:3], v[85:86], off offset:2808
	global_load_b64 v[4:5], v[85:86], off offset:6240
	global_load_b64 v[6:7], v[85:86], off offset:9672
	ds_load_b64 v[8:9], v113 offset:2808
	ds_load_b64 v[10:11], v113 offset:6240
	;; [unrolled: 1-line block ×3, first 2 shown]
	v_add_co_u32 v0, vcc_lo, v0, s4
	s_wait_alu 0xfffd
	v_add_co_ci_u32_e32 v1, vcc_lo, s5, v1, vcc_lo
	s_wait_loadcnt_dscnt 0x101
	v_dual_mul_f32 v14, v9, v3 :: v_dual_mul_f32 v15, v11, v5
	v_mul_f32_e32 v3, v8, v3
	s_wait_loadcnt_dscnt 0x0
	v_dual_mul_f32 v5, v10, v5 :: v_dual_mul_f32 v16, v13, v7
	v_mul_f32_e32 v7, v12, v7
	v_dual_fmac_f32 v14, v8, v2 :: v_dual_fmac_f32 v15, v10, v4
	v_fma_f32 v8, v2, v9, -v3
	s_delay_alu instid0(VALU_DEP_4)
	v_fma_f32 v9, v4, v11, -v5
	v_fmac_f32_e32 v16, v12, v6
	v_fma_f32 v12, v6, v13, -v7
	v_cvt_f64_f32_e32 v[2:3], v14
	v_cvt_f64_f32_e32 v[4:5], v8
	;; [unrolled: 1-line block ×6, first 2 shown]
	v_mul_f64_e32 v[2:3], s[2:3], v[2:3]
	v_mul_f64_e32 v[4:5], s[2:3], v[4:5]
	;; [unrolled: 1-line block ×6, first 2 shown]
	v_cvt_f32_f64_e32 v2, v[2:3]
	v_cvt_f32_f64_e32 v3, v[4:5]
	;; [unrolled: 1-line block ×6, first 2 shown]
	v_add_co_u32 v8, vcc_lo, v0, s6
	s_wait_alu 0xfffd
	v_add_co_ci_u32_e32 v9, vcc_lo, s7, v1, vcc_lo
	s_delay_alu instid0(VALU_DEP_2) | instskip(SKIP_1) | instid1(VALU_DEP_2)
	v_add_co_u32 v10, vcc_lo, v8, s6
	s_wait_alu 0xfffd
	v_add_co_ci_u32_e32 v11, vcc_lo, s7, v9, vcc_lo
	global_store_b64 v[0:1], v[2:3], off
	global_store_b64 v[8:9], v[4:5], off
	;; [unrolled: 1-line block ×3, first 2 shown]
.LBB0_31:
	s_nop 0
	s_sendmsg sendmsg(MSG_DEALLOC_VGPRS)
	s_endpgm
	.section	.rodata,"a",@progbits
	.p2align	6, 0x0
	.amdhsa_kernel bluestein_single_fwd_len1287_dim1_sp_op_CI_CI
		.amdhsa_group_segment_fixed_size 10296
		.amdhsa_private_segment_fixed_size 0
		.amdhsa_kernarg_size 104
		.amdhsa_user_sgpr_count 2
		.amdhsa_user_sgpr_dispatch_ptr 0
		.amdhsa_user_sgpr_queue_ptr 0
		.amdhsa_user_sgpr_kernarg_segment_ptr 1
		.amdhsa_user_sgpr_dispatch_id 0
		.amdhsa_user_sgpr_private_segment_size 0
		.amdhsa_wavefront_size32 1
		.amdhsa_uses_dynamic_stack 0
		.amdhsa_enable_private_segment 0
		.amdhsa_system_sgpr_workgroup_id_x 1
		.amdhsa_system_sgpr_workgroup_id_y 0
		.amdhsa_system_sgpr_workgroup_id_z 0
		.amdhsa_system_sgpr_workgroup_info 0
		.amdhsa_system_vgpr_workitem_id 0
		.amdhsa_next_free_vgpr 222
		.amdhsa_next_free_sgpr 18
		.amdhsa_reserve_vcc 1
		.amdhsa_float_round_mode_32 0
		.amdhsa_float_round_mode_16_64 0
		.amdhsa_float_denorm_mode_32 3
		.amdhsa_float_denorm_mode_16_64 3
		.amdhsa_fp16_overflow 0
		.amdhsa_workgroup_processor_mode 1
		.amdhsa_memory_ordered 1
		.amdhsa_forward_progress 0
		.amdhsa_round_robin_scheduling 0
		.amdhsa_exception_fp_ieee_invalid_op 0
		.amdhsa_exception_fp_denorm_src 0
		.amdhsa_exception_fp_ieee_div_zero 0
		.amdhsa_exception_fp_ieee_overflow 0
		.amdhsa_exception_fp_ieee_underflow 0
		.amdhsa_exception_fp_ieee_inexact 0
		.amdhsa_exception_int_div_zero 0
	.end_amdhsa_kernel
	.text
.Lfunc_end0:
	.size	bluestein_single_fwd_len1287_dim1_sp_op_CI_CI, .Lfunc_end0-bluestein_single_fwd_len1287_dim1_sp_op_CI_CI
                                        ; -- End function
	.section	.AMDGPU.csdata,"",@progbits
; Kernel info:
; codeLenInByte = 18480
; NumSgprs: 20
; NumVgprs: 222
; ScratchSize: 0
; MemoryBound: 0
; FloatMode: 240
; IeeeMode: 1
; LDSByteSize: 10296 bytes/workgroup (compile time only)
; SGPRBlocks: 2
; VGPRBlocks: 27
; NumSGPRsForWavesPerEU: 20
; NumVGPRsForWavesPerEU: 222
; Occupancy: 6
; WaveLimiterHint : 1
; COMPUTE_PGM_RSRC2:SCRATCH_EN: 0
; COMPUTE_PGM_RSRC2:USER_SGPR: 2
; COMPUTE_PGM_RSRC2:TRAP_HANDLER: 0
; COMPUTE_PGM_RSRC2:TGID_X_EN: 1
; COMPUTE_PGM_RSRC2:TGID_Y_EN: 0
; COMPUTE_PGM_RSRC2:TGID_Z_EN: 0
; COMPUTE_PGM_RSRC2:TIDIG_COMP_CNT: 0
	.text
	.p2alignl 7, 3214868480
	.fill 96, 4, 3214868480
	.type	__hip_cuid_fed9004bdd0a803,@object ; @__hip_cuid_fed9004bdd0a803
	.section	.bss,"aw",@nobits
	.globl	__hip_cuid_fed9004bdd0a803
__hip_cuid_fed9004bdd0a803:
	.byte	0                               ; 0x0
	.size	__hip_cuid_fed9004bdd0a803, 1

	.ident	"AMD clang version 19.0.0git (https://github.com/RadeonOpenCompute/llvm-project roc-6.4.0 25133 c7fe45cf4b819c5991fe208aaa96edf142730f1d)"
	.section	".note.GNU-stack","",@progbits
	.addrsig
	.addrsig_sym __hip_cuid_fed9004bdd0a803
	.amdgpu_metadata
---
amdhsa.kernels:
  - .args:
      - .actual_access:  read_only
        .address_space:  global
        .offset:         0
        .size:           8
        .value_kind:     global_buffer
      - .actual_access:  read_only
        .address_space:  global
        .offset:         8
        .size:           8
        .value_kind:     global_buffer
      - .actual_access:  read_only
        .address_space:  global
        .offset:         16
        .size:           8
        .value_kind:     global_buffer
      - .actual_access:  read_only
        .address_space:  global
        .offset:         24
        .size:           8
        .value_kind:     global_buffer
      - .actual_access:  read_only
        .address_space:  global
        .offset:         32
        .size:           8
        .value_kind:     global_buffer
      - .offset:         40
        .size:           8
        .value_kind:     by_value
      - .address_space:  global
        .offset:         48
        .size:           8
        .value_kind:     global_buffer
      - .address_space:  global
        .offset:         56
        .size:           8
        .value_kind:     global_buffer
      - .address_space:  global
        .offset:         64
        .size:           8
        .value_kind:     global_buffer
      - .address_space:  global
        .offset:         72
        .size:           8
        .value_kind:     global_buffer
      - .offset:         80
        .size:           4
        .value_kind:     by_value
      - .address_space:  global
        .offset:         88
        .size:           8
        .value_kind:     global_buffer
      - .address_space:  global
        .offset:         96
        .size:           8
        .value_kind:     global_buffer
    .group_segment_fixed_size: 10296
    .kernarg_segment_align: 8
    .kernarg_segment_size: 104
    .language:       OpenCL C
    .language_version:
      - 2
      - 0
    .max_flat_workgroup_size: 117
    .name:           bluestein_single_fwd_len1287_dim1_sp_op_CI_CI
    .private_segment_fixed_size: 0
    .sgpr_count:     20
    .sgpr_spill_count: 0
    .symbol:         bluestein_single_fwd_len1287_dim1_sp_op_CI_CI.kd
    .uniform_work_group_size: 1
    .uses_dynamic_stack: false
    .vgpr_count:     222
    .vgpr_spill_count: 0
    .wavefront_size: 32
    .workgroup_processor_mode: 1
amdhsa.target:   amdgcn-amd-amdhsa--gfx1201
amdhsa.version:
  - 1
  - 2
...

	.end_amdgpu_metadata
